;; amdgpu-corpus repo=ROCm/rocFFT kind=compiled arch=gfx906 opt=O3
	.text
	.amdgcn_target "amdgcn-amd-amdhsa--gfx906"
	.amdhsa_code_object_version 6
	.protected	bluestein_single_back_len51_dim1_sp_op_CI_CI ; -- Begin function bluestein_single_back_len51_dim1_sp_op_CI_CI
	.globl	bluestein_single_back_len51_dim1_sp_op_CI_CI
	.p2align	8
	.type	bluestein_single_back_len51_dim1_sp_op_CI_CI,@function
bluestein_single_back_len51_dim1_sp_op_CI_CI: ; @bluestein_single_back_len51_dim1_sp_op_CI_CI
; %bb.0:
	v_mul_u32_u24_e32 v1, 0xf10, v0
	s_load_dwordx4 s[0:3], s[4:5], 0x28
	v_lshrrev_b32_e32 v1, 16, v1
	v_mad_u64_u32 v[60:61], s[6:7], s6, 15, v[1:2]
	v_mov_b32_e32 v61, 0
	s_waitcnt lgkmcnt(0)
	v_cmp_gt_u64_e32 vcc, s[0:1], v[60:61]
	s_and_saveexec_b64 s[0:1], vcc
	s_cbranch_execz .LBB0_15
; %bb.1:
	s_mov_b32 s0, 0x88888889
	v_mul_hi_u32 v2, v60, s0
	s_load_dwordx2 s[6:7], s[4:5], 0x0
	s_load_dwordx2 s[12:13], s[4:5], 0x38
	v_mul_lo_u16_e32 v1, 17, v1
	v_sub_u16_e32 v69, v0, v1
	v_lshrrev_b32_e32 v2, 3, v2
	v_mul_lo_u32 v2, v2, 15
	v_cmp_gt_u16_e32 vcc, 3, v69
	v_lshlrev_b32_e32 v64, 3, v69
	v_or_b32_e32 v67, 12, v69
	v_sub_u32_e32 v0, v60, v2
	v_mul_u32_u24_e32 v68, 51, v0
	v_lshlrev_b32_e32 v70, 3, v68
	v_or_b32_e32 v66, 24, v69
	v_or_b32_e32 v65, 36, v69
	;; [unrolled: 1-line block ×3, first 2 shown]
	s_and_saveexec_b64 s[14:15], vcc
	s_cbranch_execz .LBB0_3
; %bb.2:
	s_load_dwordx2 s[0:1], s[4:5], 0x18
	s_waitcnt lgkmcnt(0)
	s_load_dwordx4 s[8:11], s[0:1], 0x0
	s_waitcnt lgkmcnt(0)
	v_mad_u64_u32 v[0:1], s[0:1], s10, v60, 0
	v_mad_u64_u32 v[2:3], s[0:1], s8, v69, 0
	s_mul_hi_u32 s16, s8, 48
	s_mul_i32 s10, s8, 48
	v_mad_u64_u32 v[4:5], s[0:1], s11, v60, v[1:2]
	s_mul_i32 s11, s9, 48
	s_add_i32 s11, s16, s11
	v_mad_u64_u32 v[5:6], s[0:1], s9, v69, v[3:4]
	v_mov_b32_e32 v1, v4
	v_lshlrev_b64 v[0:1], 3, v[0:1]
	v_mov_b32_e32 v3, v5
	v_mov_b32_e32 v6, s3
	v_lshlrev_b64 v[2:3], 3, v[2:3]
	v_add_co_u32_e64 v79, s[0:1], s2, v0
	v_addc_co_u32_e64 v80, s[0:1], v6, v1, s[0:1]
	v_add_co_u32_e64 v0, s[0:1], v79, v2
	v_addc_co_u32_e64 v1, s[0:1], v80, v3, s[0:1]
	s_mul_i32 s0, s9, 24
	s_mul_hi_u32 s3, s8, 24
	s_add_i32 s3, s3, s0
	s_mul_i32 s2, s8, 24
	v_mov_b32_e32 v3, s3
	v_add_co_u32_e64 v2, s[0:1], s2, v0
	v_addc_co_u32_e64 v3, s[0:1], v1, v3, s[0:1]
	v_mov_b32_e32 v5, s3
	v_add_co_u32_e64 v4, s[0:1], s2, v2
	v_addc_co_u32_e64 v5, s[0:1], v3, v5, s[0:1]
	;; [unrolled: 3-line block ×3, first 2 shown]
	global_load_dwordx2 v[8:9], v64, s[6:7]
	global_load_dwordx2 v[10:11], v64, s[6:7] offset:24
	global_load_dwordx2 v[12:13], v64, s[6:7] offset:48
	;; [unrolled: 1-line block ×3, first 2 shown]
	global_load_dwordx2 v[16:17], v[0:1], off
	global_load_dwordx2 v[18:19], v[2:3], off
	;; [unrolled: 1-line block ×4, first 2 shown]
	v_mad_u64_u32 v[0:1], s[0:1], s8, v67, 0
	v_mov_b32_e32 v3, s11
	v_mov_b32_e32 v32, s3
	v_mad_u64_u32 v[1:2], s[0:1], s9, v67, v[1:2]
	v_add_co_u32_e64 v2, s[0:1], s10, v6
	v_lshlrev_b64 v[0:1], 3, v[0:1]
	v_addc_co_u32_e64 v3, s[0:1], v7, v3, s[0:1]
	v_add_co_u32_e64 v0, s[0:1], v79, v0
	v_addc_co_u32_e64 v1, s[0:1], v80, v1, s[0:1]
	global_load_dwordx2 v[4:5], v[0:1], off
	global_load_dwordx2 v[6:7], v[2:3], off
	global_load_dwordx2 v[24:25], v64, s[6:7] offset:96
	global_load_dwordx2 v[26:27], v64, s[6:7] offset:120
	;; [unrolled: 1-line block ×4, first 2 shown]
	v_mad_u64_u32 v[0:1], s[0:1], s8, v66, 0
	v_add_co_u32_e64 v2, s[0:1], s2, v2
	v_addc_co_u32_e64 v3, s[0:1], v3, v32, s[0:1]
	v_mad_u64_u32 v[34:35], s[0:1], s9, v66, v[1:2]
	global_load_dwordx2 v[32:33], v[2:3], off
	v_mov_b32_e32 v36, s3
	v_add_co_u32_e64 v2, s[0:1], s2, v2
	v_addc_co_u32_e64 v3, s[0:1], v3, v36, s[0:1]
	global_load_dwordx2 v[35:36], v[2:3], off
	v_mov_b32_e32 v1, v34
	v_lshlrev_b64 v[0:1], 3, v[0:1]
	v_mov_b32_e32 v34, s3
	v_add_co_u32_e64 v0, s[0:1], v79, v0
	v_addc_co_u32_e64 v1, s[0:1], v80, v1, s[0:1]
	global_load_dwordx2 v[37:38], v[0:1], off
	global_load_dwordx2 v[39:40], v64, s[6:7] offset:192
	global_load_dwordx2 v[41:42], v64, s[6:7] offset:216
	global_load_dwordx2 v[43:44], v64, s[6:7] offset:240
	global_load_dwordx2 v[45:46], v64, s[6:7] offset:264
	v_mov_b32_e32 v1, s11
	v_add_co_u32_e64 v0, s[0:1], s10, v2
	v_addc_co_u32_e64 v1, s[0:1], v3, v1, s[0:1]
	v_mad_u64_u32 v[47:48], s[0:1], s8, v65, 0
	global_load_dwordx2 v[2:3], v[0:1], off
	v_add_co_u32_e64 v0, s[0:1], s2, v0
	v_addc_co_u32_e64 v1, s[0:1], v1, v34, s[0:1]
	v_mov_b32_e32 v34, v48
	global_load_dwordx2 v[49:50], v[0:1], off
	v_mov_b32_e32 v53, s3
	s_waitcnt vmcnt(7)
	v_mad_u64_u32 v[51:52], s[0:1], s9, v65, v[34:35]
	v_add_co_u32_e64 v0, s[0:1], s2, v0
	v_mov_b32_e32 v48, v51
	v_lshlrev_b64 v[47:48], 3, v[47:48]
	v_addc_co_u32_e64 v1, s[0:1], v1, v53, s[0:1]
	v_add_co_u32_e64 v47, s[0:1], v79, v47
	v_addc_co_u32_e64 v48, s[0:1], v80, v48, s[0:1]
	global_load_dwordx2 v[52:53], v[0:1], off
	v_mov_b32_e32 v34, s11
	v_add_co_u32_e64 v0, s[0:1], s10, v0
	v_addc_co_u32_e64 v1, s[0:1], v1, v34, s[0:1]
	v_mad_u64_u32 v[73:74], s[0:1], s8, v63, 0
	global_load_dwordx2 v[54:55], v[47:48], off
	global_load_dwordx2 v[56:57], v64, s[6:7] offset:288
	global_load_dwordx2 v[58:59], v64, s[6:7] offset:312
	;; [unrolled: 1-line block ×4, first 2 shown]
	v_mov_b32_e32 v34, s3
	global_load_dwordx2 v[47:48], v[0:1], off
	v_add_co_u32_e64 v0, s[0:1], s2, v0
	v_addc_co_u32_e64 v1, s[0:1], v1, v34, s[0:1]
	v_mov_b32_e32 v34, v74
	v_mad_u64_u32 v[77:78], s[0:1], s9, v63, v[34:35]
	global_load_dwordx2 v[75:76], v[0:1], off
	v_mov_b32_e32 v51, s3
	v_mov_b32_e32 v74, v77
	v_add_co_u32_e64 v0, s[0:1], s2, v0
	v_lshlrev_b64 v[73:74], 3, v[73:74]
	v_addc_co_u32_e64 v1, s[0:1], v1, v51, s[0:1]
	global_load_dwordx2 v[0:1], v[0:1], off
	v_add_co_u32_e64 v73, s[0:1], v79, v73
	v_addc_co_u32_e64 v74, s[0:1], v80, v74, s[0:1]
	global_load_dwordx2 v[77:78], v[73:74], off
	global_load_dwordx2 v[79:80], v64, s[6:7] offset:384
	v_mul_f32_e32 v34, v16, v9
	v_mul_f32_e32 v73, v17, v9
	v_fma_f32 v74, v17, v8, -v34
	v_fmac_f32_e32 v73, v16, v8
	v_mul_f32_e32 v8, v4, v25
	v_fma_f32 v9, v5, v24, -v8
	v_mul_f32_e32 v8, v5, v25
	v_fmac_f32_e32 v8, v4, v24
	v_mul_f32_e32 v4, v18, v11
	v_fma_f32 v5, v19, v10, -v4
	v_mul_f32_e32 v4, v19, v11
	;; [unrolled: 4-line block ×3, first 2 shown]
	v_fmac_f32_e32 v10, v20, v12
	v_lshl_add_u32 v12, v69, 3, v70
	ds_write_b64 v12, v[73:74]
	v_add_u32_e32 v12, v70, v64
	ds_write2_b64 v12, v[4:5], v[10:11] offset0:3 offset1:6
	v_mul_f32_e32 v4, v22, v15
	v_fma_f32 v5, v23, v14, -v4
	v_mul_f32_e32 v4, v23, v15
	v_fmac_f32_e32 v4, v22, v14
	ds_write2_b64 v12, v[4:5], v[8:9] offset0:9 offset1:12
	v_mul_f32_e32 v4, v6, v27
	v_fma_f32 v5, v7, v26, -v4
	v_mul_f32_e32 v4, v7, v27
	v_fmac_f32_e32 v4, v6, v26
	v_mul_f32_e32 v6, v32, v29
	v_fma_f32 v7, v33, v28, -v6
	v_mul_f32_e32 v6, v33, v29
	v_fmac_f32_e32 v6, v32, v28
	ds_write2_b64 v12, v[4:5], v[6:7] offset0:15 offset1:18
	v_mul_f32_e32 v4, v35, v31
	s_waitcnt vmcnt(16)
	v_mul_f32_e32 v6, v37, v40
	v_fma_f32 v5, v36, v30, -v4
	v_mul_f32_e32 v4, v36, v31
	v_fma_f32 v7, v38, v39, -v6
	v_mul_f32_e32 v6, v38, v40
	v_fmac_f32_e32 v4, v35, v30
	v_fmac_f32_e32 v6, v37, v39
	ds_write2_b64 v12, v[4:5], v[6:7] offset0:21 offset1:24
	s_waitcnt vmcnt(12)
	v_mul_f32_e32 v4, v2, v42
	v_fma_f32 v4, v3, v41, -v4
	v_mul_f32_e32 v3, v3, v42
	v_fmac_f32_e32 v3, v2, v41
	s_waitcnt vmcnt(11)
	v_mul_f32_e32 v2, v49, v44
	v_mul_f32_e32 v5, v50, v44
	v_fma_f32 v6, v50, v43, -v2
	v_fmac_f32_e32 v5, v49, v43
	ds_write2_b64 v12, v[3:4], v[5:6] offset0:27 offset1:30
	s_waitcnt vmcnt(10)
	v_mul_f32_e32 v2, v52, v46
	s_waitcnt vmcnt(8)
	v_mul_f32_e32 v4, v54, v57
	v_fma_f32 v3, v53, v45, -v2
	v_mul_f32_e32 v2, v53, v46
	v_fma_f32 v5, v55, v56, -v4
	v_mul_f32_e32 v4, v55, v57
	v_fmac_f32_e32 v2, v52, v45
	v_fmac_f32_e32 v4, v54, v56
	ds_write2_b64 v12, v[2:3], v[4:5] offset0:33 offset1:36
	s_waitcnt vmcnt(4)
	v_mul_f32_e32 v2, v47, v59
	v_fma_f32 v3, v48, v58, -v2
	v_mul_f32_e32 v2, v48, v59
	v_fmac_f32_e32 v2, v47, v58
	s_waitcnt vmcnt(3)
	v_mul_f32_e32 v4, v75, v62
	v_fma_f32 v5, v76, v61, -v4
	v_mul_f32_e32 v4, v76, v62
	v_fmac_f32_e32 v4, v75, v61
	ds_write2_b64 v12, v[2:3], v[4:5] offset0:39 offset1:42
	s_waitcnt vmcnt(2)
	v_mul_f32_e32 v2, v0, v72
	v_fma_f32 v2, v1, v71, -v2
	v_mul_f32_e32 v1, v1, v72
	v_fmac_f32_e32 v1, v0, v71
	s_waitcnt vmcnt(0)
	v_mul_f32_e32 v3, v78, v80
	v_mul_f32_e32 v0, v77, v80
	v_fmac_f32_e32 v3, v77, v79
	v_fma_f32 v4, v78, v79, -v0
	ds_write2_b64 v12, v[1:2], v[3:4] offset0:45 offset1:48
.LBB0_3:
	s_or_b64 exec, exec, s[14:15]
	s_load_dwordx2 s[0:1], s[4:5], 0x20
	s_load_dwordx2 s[8:9], s[4:5], 0x8
	v_mov_b32_e32 v0, 0
	v_mov_b32_e32 v1, 0
	s_waitcnt lgkmcnt(0)
	s_barrier
	s_waitcnt lgkmcnt(0)
                                        ; implicit-def: $vgpr5
                                        ; implicit-def: $vgpr9
                                        ; implicit-def: $vgpr13
                                        ; implicit-def: $vgpr37
                                        ; implicit-def: $vgpr31
                                        ; implicit-def: $vgpr27
                                        ; implicit-def: $vgpr23
                                        ; implicit-def: $vgpr18
	s_and_saveexec_b64 s[2:3], vcc
	s_cbranch_execz .LBB0_5
; %bb.4:
	v_lshl_add_u32 v32, v68, 3, v64
	ds_read2_b64 v[0:3], v32 offset1:3
	ds_read2_b64 v[16:19], v32 offset0:6 offset1:9
	ds_read2_b64 v[4:7], v32 offset0:12 offset1:15
	;; [unrolled: 1-line block ×7, first 2 shown]
	ds_read_b64 v[36:37], v32 offset:384
.LBB0_5:
	s_or_b64 exec, exec, s[2:3]
	s_waitcnt lgkmcnt(0)
	v_sub_f32_e32 v33, v3, v37
	v_mul_f32_e32 v71, 0xbeb8f4ab, v33
	v_sub_f32_e32 v84, v17, v31
	v_add_f32_e32 v76, v36, v2
	v_sub_f32_e32 v32, v2, v36
	v_mov_b32_e32 v34, v71
	v_mul_f32_e32 v78, 0xbf2c7751, v84
	v_add_f32_e32 v77, v37, v3
	s_mov_b32 s14, 0x3f6eb680
	v_mul_f32_e32 v72, 0xbeb8f4ab, v32
	v_fmac_f32_e32 v34, 0x3f6eb680, v76
	v_add_f32_e32 v81, v30, v16
	v_sub_f32_e32 v74, v16, v30
	v_mov_b32_e32 v80, v78
	v_add_f32_e32 v34, v34, v0
	v_fma_f32 v35, v77, s14, -v72
	s_mov_b32 s10, 0x3f3d2fb0
	v_add_f32_e32 v82, v31, v17
	v_mul_f32_e32 v79, 0xbf2c7751, v74
	v_fmac_f32_e32 v80, 0x3f3d2fb0, v81
	v_add_f32_e32 v35, v35, v1
	v_mul_f32_e32 v73, 0xbf2c7751, v33
	v_add_f32_e32 v34, v80, v34
	v_fma_f32 v80, v82, s10, -v79
	v_mov_b32_e32 v38, v73
	v_add_f32_e32 v35, v80, v35
	v_mul_f32_e32 v80, 0xbf7ee86f, v84
	v_mul_f32_e32 v75, 0xbf2c7751, v32
	v_fmac_f32_e32 v38, 0x3f3d2fb0, v76
	v_mov_b32_e32 v85, v80
	v_add_f32_e32 v38, v38, v0
	v_fma_f32 v39, v77, s10, -v75
	s_mov_b32 s2, 0x3dbcf732
	v_mul_f32_e32 v83, 0xbf7ee86f, v74
	v_fmac_f32_e32 v85, 0x3dbcf732, v81
	v_add_f32_e32 v39, v39, v1
	v_mul_f32_e32 v40, 0xbf65296c, v33
	s_mov_b32 s4, 0x3ee437d1
	v_add_f32_e32 v38, v85, v38
	v_fma_f32 v85, v82, s2, -v83
	v_fma_f32 v41, v76, s4, -v40
	s_mov_b32 s5, 0xbf1a4643
	v_add_f32_e32 v39, v85, v39
	v_mul_f32_e32 v85, 0xbf4c4adb, v84
	v_add_f32_e32 v41, v41, v0
	v_mul_f32_e32 v42, 0xbf65296c, v32
	v_fmac_f32_e32 v40, 0x3ee437d1, v76
	v_fma_f32 v86, v81, s5, -v85
	v_mov_b32_e32 v43, v42
	v_add_f32_e32 v40, v40, v0
	v_fma_f32 v42, v77, s4, -v42
	v_add_f32_e32 v41, v86, v41
	v_mul_f32_e32 v86, 0xbf4c4adb, v74
	v_fmac_f32_e32 v85, 0xbf1a4643, v81
	v_add_f32_e32 v42, v42, v1
	v_mul_f32_e32 v44, 0xbf7ee86f, v33
	v_add_f32_e32 v40, v85, v40
	v_fma_f32 v85, v82, s5, -v86
	v_fma_f32 v45, v76, s2, -v44
	s_mov_b32 s15, 0xbf7ba420
	v_add_f32_e32 v42, v85, v42
	v_mul_f32_e32 v85, 0xbe3c28d5, v84
	v_add_f32_e32 v45, v45, v0
	v_mul_f32_e32 v46, 0xbf7ee86f, v32
	v_fmac_f32_e32 v44, 0x3dbcf732, v76
	v_mov_b32_e32 v87, v86
	v_fma_f32 v86, v81, s15, -v85
	v_mov_b32_e32 v47, v46
	v_add_f32_e32 v44, v44, v0
	v_fma_f32 v46, v77, s2, -v46
	v_add_f32_e32 v45, v86, v45
	v_mul_f32_e32 v86, 0xbe3c28d5, v74
	v_fmac_f32_e32 v85, 0xbf7ba420, v81
	v_fmac_f32_e32 v43, 0x3ee437d1, v77
	v_add_f32_e32 v46, v46, v1
	v_mul_f32_e32 v48, 0xbf763a35, v33
	s_mov_b32 s3, 0xbe8c1d8e
	v_add_f32_e32 v44, v85, v44
	v_fma_f32 v85, v82, s15, -v86
	v_add_f32_e32 v43, v43, v1
	v_fma_f32 v49, v76, s3, -v48
	s_mov_b32 s11, 0xbf59a7d5
	v_fmac_f32_e32 v87, 0xbf1a4643, v82
	v_add_f32_e32 v46, v85, v46
	v_mul_f32_e32 v85, 0x3f06c442, v84
	v_add_f32_e32 v49, v49, v0
	v_mul_f32_e32 v50, 0xbf763a35, v32
	v_fmac_f32_e32 v48, 0xbe8c1d8e, v76
	v_add_f32_e32 v43, v87, v43
	v_mov_b32_e32 v87, v86
	v_fma_f32 v86, v81, s11, -v85
	v_mov_b32_e32 v51, v50
	v_add_f32_e32 v48, v48, v0
	v_fma_f32 v50, v77, s3, -v50
	v_add_f32_e32 v49, v86, v49
	v_mul_f32_e32 v86, 0x3f06c442, v74
	v_fmac_f32_e32 v85, 0xbf59a7d5, v81
	v_fmac_f32_e32 v47, 0x3dbcf732, v77
	v_add_f32_e32 v50, v50, v1
	v_mul_f32_e32 v52, 0xbf4c4adb, v33
	v_add_f32_e32 v48, v85, v48
	v_fma_f32 v85, v82, s11, -v86
	v_add_f32_e32 v47, v47, v1
	v_fma_f32 v53, v76, s5, -v52
	v_fmac_f32_e32 v87, 0xbf7ba420, v82
	v_add_f32_e32 v50, v85, v50
	v_mul_f32_e32 v85, 0x3f763a35, v84
	v_add_f32_e32 v53, v53, v0
	v_mul_f32_e32 v54, 0xbf4c4adb, v32
	v_fmac_f32_e32 v52, 0xbf1a4643, v76
	v_add_f32_e32 v47, v87, v47
	v_mov_b32_e32 v87, v86
	v_fma_f32 v86, v81, s3, -v85
	v_mov_b32_e32 v55, v54
	v_add_f32_e32 v52, v52, v0
	v_fma_f32 v54, v77, s5, -v54
	v_add_f32_e32 v53, v86, v53
	v_mul_f32_e32 v86, 0x3f763a35, v74
	v_fmac_f32_e32 v85, 0xbe8c1d8e, v81
	v_fmac_f32_e32 v51, 0xbe8c1d8e, v77
	v_add_f32_e32 v54, v54, v1
	v_mul_f32_e32 v56, 0xbf06c442, v33
	v_add_f32_e32 v52, v85, v52
	v_fma_f32 v85, v82, s3, -v86
	v_add_f32_e32 v51, v51, v1
	v_fma_f32 v57, v76, s11, -v56
	v_fmac_f32_e32 v87, 0xbf59a7d5, v82
	v_add_f32_e32 v54, v85, v54
	v_mul_f32_e32 v85, 0x3f65296c, v84
	v_add_f32_e32 v57, v57, v0
	v_mul_f32_e32 v58, 0xbf06c442, v32
	v_fmac_f32_e32 v56, 0xbf59a7d5, v76
	v_add_f32_e32 v51, v87, v51
	v_mov_b32_e32 v87, v86
	v_fma_f32 v86, v81, s4, -v85
	v_fmac_f32_e32 v55, 0xbf1a4643, v77
	v_mov_b32_e32 v59, v58
	v_add_f32_e32 v56, v56, v0
	v_fma_f32 v58, v77, s11, -v58
	v_mul_f32_e32 v33, 0xbe3c28d5, v33
	v_add_f32_e32 v57, v86, v57
	v_mul_f32_e32 v86, 0x3f65296c, v74
	v_fmac_f32_e32 v85, 0x3ee437d1, v81
	v_add_f32_e32 v55, v55, v1
	v_add_f32_e32 v58, v58, v1
	v_fma_f32 v61, v76, s15, -v33
	v_mul_f32_e32 v32, 0xbe3c28d5, v32
	v_fmac_f32_e32 v33, 0xbf7ba420, v76
	v_fmac_f32_e32 v87, 0xbe8c1d8e, v82
	v_add_f32_e32 v56, v85, v56
	v_fma_f32 v85, v82, s4, -v86
	v_mul_f32_e32 v84, 0x3eb8f4ab, v84
	v_fmac_f32_e32 v59, 0xbf59a7d5, v77
	v_add_f32_e32 v61, v61, v0
	v_mov_b32_e32 v62, v32
	v_add_f32_e32 v33, v33, v0
	v_fma_f32 v32, v77, s15, -v32
	v_add_f32_e32 v55, v87, v55
	v_mov_b32_e32 v87, v86
	v_add_f32_e32 v58, v85, v58
	v_fma_f32 v85, v81, s14, -v84
	v_mul_f32_e32 v74, 0x3eb8f4ab, v74
	v_fmac_f32_e32 v84, 0x3f6eb680, v81
	v_sub_f32_e32 v90, v19, v29
	v_add_f32_e32 v59, v59, v1
	v_fmac_f32_e32 v62, 0xbf7ba420, v77
	v_add_f32_e32 v32, v32, v1
	v_fmac_f32_e32 v87, 0x3ee437d1, v82
	v_add_f32_e32 v61, v85, v61
	v_mov_b32_e32 v85, v74
	v_add_f32_e32 v33, v84, v33
	v_fma_f32 v74, v82, s14, -v74
	v_mul_f32_e32 v84, 0xbf65296c, v90
	v_add_f32_e32 v62, v62, v1
	v_add_f32_e32 v59, v87, v59
	v_fmac_f32_e32 v85, 0x3f6eb680, v82
	v_add_f32_e32 v32, v74, v32
	v_add_f32_e32 v87, v28, v18
	v_sub_f32_e32 v74, v18, v28
	v_mov_b32_e32 v86, v84
	v_add_f32_e32 v62, v85, v62
	v_add_f32_e32 v88, v29, v19
	v_mul_f32_e32 v85, 0xbf65296c, v74
	v_fmac_f32_e32 v86, 0x3ee437d1, v87
	v_add_f32_e32 v34, v86, v34
	v_fma_f32 v86, v88, s4, -v85
	v_add_f32_e32 v35, v86, v35
	v_mul_f32_e32 v86, 0xbf4c4adb, v90
	v_mov_b32_e32 v91, v86
	v_mul_f32_e32 v89, 0xbf4c4adb, v74
	v_fmac_f32_e32 v91, 0xbf1a4643, v87
	v_add_f32_e32 v38, v91, v38
	v_fma_f32 v91, v88, s5, -v89
	v_add_f32_e32 v39, v91, v39
	v_mul_f32_e32 v91, 0x3e3c28d5, v90
	v_fma_f32 v92, v87, s15, -v91
	v_add_f32_e32 v41, v92, v41
	v_mul_f32_e32 v92, 0x3e3c28d5, v74
	v_fmac_f32_e32 v91, 0xbf7ba420, v87
	v_add_f32_e32 v40, v91, v40
	v_fma_f32 v91, v88, s15, -v92
	v_add_f32_e32 v42, v91, v42
	v_mul_f32_e32 v91, 0x3f763a35, v90
	v_mov_b32_e32 v93, v92
	v_fma_f32 v92, v87, s3, -v91
	v_add_f32_e32 v45, v92, v45
	v_mul_f32_e32 v92, 0x3f763a35, v74
	v_fmac_f32_e32 v91, 0xbe8c1d8e, v87
	v_add_f32_e32 v44, v91, v44
	v_fma_f32 v91, v88, s3, -v92
	v_fmac_f32_e32 v93, 0xbf7ba420, v88
	v_add_f32_e32 v46, v91, v46
	v_mul_f32_e32 v91, 0x3f2c7751, v90
	v_add_f32_e32 v43, v93, v43
	v_mov_b32_e32 v93, v92
	v_fma_f32 v92, v87, s10, -v91
	v_add_f32_e32 v49, v92, v49
	v_mul_f32_e32 v92, 0x3f2c7751, v74
	v_fmac_f32_e32 v91, 0x3f3d2fb0, v87
	v_add_f32_e32 v48, v91, v48
	v_fma_f32 v91, v88, s10, -v92
	v_fmac_f32_e32 v93, 0xbe8c1d8e, v88
	v_add_f32_e32 v50, v91, v50
	v_mul_f32_e32 v91, 0xbeb8f4ab, v90
	v_add_f32_e32 v47, v93, v47
	;; [unrolled: 11-line block ×3, first 2 shown]
	v_mov_b32_e32 v93, v92
	v_fma_f32 v92, v87, s2, -v91
	v_add_f32_e32 v57, v92, v57
	v_mul_f32_e32 v92, 0xbf7ee86f, v74
	v_fmac_f32_e32 v91, 0x3dbcf732, v87
	v_add_f32_e32 v56, v91, v56
	v_fma_f32 v91, v88, s2, -v92
	v_mul_f32_e32 v90, 0xbf06c442, v90
	v_add_f32_e32 v58, v91, v58
	v_fma_f32 v91, v87, s11, -v90
	v_mul_f32_e32 v74, 0xbf06c442, v74
	v_add_f32_e32 v61, v91, v61
	v_mov_b32_e32 v91, v74
	v_fma_f32 v74, v88, s11, -v74
	v_fmac_f32_e32 v93, 0x3f6eb680, v88
	v_fmac_f32_e32 v90, 0xbf59a7d5, v87
	v_add_f32_e32 v32, v74, v32
	v_add_f32_e32 v74, v4, v26
	;; [unrolled: 1-line block ×3, first 2 shown]
	v_mov_b32_e32 v93, v92
	v_add_f32_e32 v33, v90, v33
	v_mul_f32_e32 v90, 0x3dbcf732, v74
	v_fmac_f32_e32 v93, 0x3dbcf732, v88
	v_fmac_f32_e32 v91, 0xbf59a7d5, v88
	v_sub_f32_e32 v96, v4, v26
	v_sub_f32_e32 v94, v5, v27
	v_mov_b32_e32 v92, v90
	v_add_f32_e32 v59, v93, v59
	v_add_f32_e32 v62, v91, v62
	;; [unrolled: 1-line block ×3, first 2 shown]
	v_mul_f32_e32 v91, 0xbf7ee86f, v96
	v_fmac_f32_e32 v92, 0xbf7ee86f, v94
	v_add_f32_e32 v34, v92, v34
	v_fma_f32 v92, v93, s2, -v91
	v_add_f32_e32 v35, v92, v35
	v_mul_f32_e32 v92, 0xbf7ba420, v74
	v_mov_b32_e32 v97, v92
	v_mul_f32_e32 v95, 0xbe3c28d5, v96
	v_fmac_f32_e32 v97, 0xbe3c28d5, v94
	v_add_f32_e32 v38, v97, v38
	v_fma_f32 v97, v93, s15, -v95
	v_add_f32_e32 v39, v97, v39
	v_mul_f32_e32 v97, 0xbe8c1d8e, v74
	v_mov_b32_e32 v98, v97
	v_fmac_f32_e32 v98, 0xbf763a35, v94
	v_add_f32_e32 v41, v98, v41
	v_mul_f32_e32 v98, 0x3f763a35, v96
	v_fmac_f32_e32 v97, 0x3f763a35, v94
	v_add_f32_e32 v40, v97, v40
	v_fma_f32 v97, v93, s3, -v98
	v_add_f32_e32 v42, v97, v42
	v_mul_f32_e32 v97, 0x3f6eb680, v74
	v_mov_b32_e32 v99, v98
	v_mov_b32_e32 v98, v97
	v_fmac_f32_e32 v98, 0xbeb8f4ab, v94
	v_add_f32_e32 v45, v98, v45
	v_mul_f32_e32 v98, 0x3eb8f4ab, v96
	v_fmac_f32_e32 v97, 0x3eb8f4ab, v94
	v_add_f32_e32 v44, v97, v44
	v_fma_f32 v97, v93, s14, -v98
	v_fmac_f32_e32 v99, 0xbe8c1d8e, v93
	v_add_f32_e32 v46, v97, v46
	v_mul_f32_e32 v97, 0x3ee437d1, v74
	v_add_f32_e32 v43, v99, v43
	v_mov_b32_e32 v99, v98
	v_mov_b32_e32 v98, v97
	v_fmac_f32_e32 v98, 0x3f65296c, v94
	v_add_f32_e32 v49, v98, v49
	v_mul_f32_e32 v98, 0xbf65296c, v96
	v_fmac_f32_e32 v97, 0xbf65296c, v94
	v_add_f32_e32 v48, v97, v48
	v_fma_f32 v97, v93, s4, -v98
	v_fmac_f32_e32 v99, 0x3f6eb680, v93
	v_add_f32_e32 v50, v97, v50
	v_mul_f32_e32 v97, 0xbf59a7d5, v74
	v_add_f32_e32 v47, v99, v47
	;; [unrolled: 12-line block ×3, first 2 shown]
	v_mov_b32_e32 v99, v98
	v_mov_b32_e32 v98, v97
	v_fmac_f32_e32 v98, 0xbf4c4adb, v94
	v_add_f32_e32 v57, v98, v57
	v_mul_f32_e32 v98, 0x3f4c4adb, v96
	v_fmac_f32_e32 v97, 0x3f4c4adb, v94
	v_add_f32_e32 v56, v97, v56
	v_fma_f32 v97, v93, s5, -v98
	v_mul_f32_e32 v74, 0x3f3d2fb0, v74
	v_add_f32_e32 v58, v97, v58
	v_mov_b32_e32 v97, v74
	v_mul_f32_e32 v96, 0x3f2c7751, v96
	v_fmac_f32_e32 v74, 0x3f2c7751, v94
	v_add_f32_e32 v33, v74, v33
	v_fma_f32 v74, v93, s10, -v96
	v_fmac_f32_e32 v99, 0xbf59a7d5, v93
	v_fmac_f32_e32 v97, 0xbf2c7751, v94
	v_add_f32_e32 v32, v74, v32
	v_add_f32_e32 v74, v6, v24
	;; [unrolled: 1-line block ×3, first 2 shown]
	v_mov_b32_e32 v99, v98
	v_add_f32_e32 v61, v97, v61
	v_mov_b32_e32 v97, v96
	v_mul_f32_e32 v96, 0xbe8c1d8e, v74
	v_fmac_f32_e32 v99, 0xbf1a4643, v93
	v_fmac_f32_e32 v97, 0x3f3d2fb0, v93
	v_sub_f32_e32 v102, v6, v24
	v_sub_f32_e32 v100, v7, v25
	v_mov_b32_e32 v98, v96
	v_add_f32_e32 v59, v99, v59
	v_add_f32_e32 v62, v97, v62
	;; [unrolled: 1-line block ×3, first 2 shown]
	v_mul_f32_e32 v97, 0xbf763a35, v102
	v_fmac_f32_e32 v98, 0xbf763a35, v100
	v_add_f32_e32 v34, v98, v34
	v_fma_f32 v98, v99, s3, -v97
	v_add_f32_e32 v35, v98, v35
	v_mul_f32_e32 v98, 0xbf59a7d5, v74
	v_mov_b32_e32 v103, v98
	v_mul_f32_e32 v101, 0x3f06c442, v102
	v_fmac_f32_e32 v103, 0x3f06c442, v100
	v_add_f32_e32 v38, v103, v38
	v_fma_f32 v103, v99, s11, -v101
	v_add_f32_e32 v39, v103, v39
	v_mul_f32_e32 v103, 0x3f3d2fb0, v74
	v_mov_b32_e32 v104, v103
	v_fmac_f32_e32 v104, 0xbf2c7751, v100
	v_add_f32_e32 v41, v104, v41
	v_mul_f32_e32 v104, 0x3f2c7751, v102
	v_fmac_f32_e32 v103, 0x3f2c7751, v100
	v_add_f32_e32 v40, v103, v40
	v_fma_f32 v103, v99, s10, -v104
	v_add_f32_e32 v42, v103, v42
	v_mul_f32_e32 v103, 0x3ee437d1, v74
	v_mov_b32_e32 v105, v104
	v_mov_b32_e32 v104, v103
	v_fmac_f32_e32 v104, 0x3f65296c, v100
	v_add_f32_e32 v45, v104, v45
	v_mul_f32_e32 v104, 0xbf65296c, v102
	v_fmac_f32_e32 v103, 0xbf65296c, v100
	v_add_f32_e32 v44, v103, v44
	v_fma_f32 v103, v99, s4, -v104
	v_fmac_f32_e32 v105, 0x3f3d2fb0, v99
	v_add_f32_e32 v46, v103, v46
	v_mul_f32_e32 v103, 0xbf7ba420, v74
	v_add_f32_e32 v43, v105, v43
	v_mov_b32_e32 v105, v104
	v_mov_b32_e32 v104, v103
	v_fmac_f32_e32 v104, 0x3e3c28d5, v100
	v_add_f32_e32 v49, v104, v49
	v_mul_f32_e32 v104, 0xbe3c28d5, v102
	v_fmac_f32_e32 v103, 0xbe3c28d5, v100
	v_add_f32_e32 v48, v103, v48
	v_fma_f32 v103, v99, s15, -v104
	v_fmac_f32_e32 v105, 0x3ee437d1, v99
	v_add_f32_e32 v50, v103, v50
	v_mul_f32_e32 v103, 0x3dbcf732, v74
	v_add_f32_e32 v47, v105, v47
	;; [unrolled: 12-line block ×3, first 2 shown]
	v_mov_b32_e32 v105, v104
	v_mov_b32_e32 v104, v103
	v_fmac_f32_e32 v104, 0x3eb8f4ab, v100
	v_add_f32_e32 v57, v104, v57
	v_mul_f32_e32 v104, 0xbeb8f4ab, v102
	v_fmac_f32_e32 v103, 0xbeb8f4ab, v100
	v_add_f32_e32 v56, v103, v56
	v_fma_f32 v103, v99, s14, -v104
	v_mul_f32_e32 v74, 0xbf1a4643, v74
	v_add_f32_e32 v58, v103, v58
	v_mov_b32_e32 v103, v74
	v_mul_f32_e32 v102, 0xbf4c4adb, v102
	v_fmac_f32_e32 v74, 0xbf4c4adb, v100
	v_add_f32_e32 v33, v74, v33
	v_fma_f32 v74, v99, s5, -v102
	v_fmac_f32_e32 v105, 0x3dbcf732, v99
	v_fmac_f32_e32 v103, 0x3f4c4adb, v100
	v_add_f32_e32 v32, v74, v32
	v_add_f32_e32 v74, v8, v22
	v_add_f32_e32 v55, v105, v55
	v_mov_b32_e32 v105, v104
	v_add_f32_e32 v61, v103, v61
	v_mov_b32_e32 v103, v102
	v_mul_f32_e32 v102, 0xbf1a4643, v74
	v_fmac_f32_e32 v105, 0x3f6eb680, v99
	v_fmac_f32_e32 v103, 0xbf1a4643, v99
	v_sub_f32_e32 v108, v8, v22
	v_sub_f32_e32 v106, v9, v23
	v_mov_b32_e32 v104, v102
	v_add_f32_e32 v59, v105, v59
	v_add_f32_e32 v62, v103, v62
	;; [unrolled: 1-line block ×3, first 2 shown]
	v_mul_f32_e32 v103, 0xbf4c4adb, v108
	v_fmac_f32_e32 v104, 0xbf4c4adb, v106
	v_add_f32_e32 v34, v104, v34
	v_fma_f32 v104, v105, s5, -v103
	v_add_f32_e32 v35, v104, v35
	v_mul_f32_e32 v104, 0xbe8c1d8e, v74
	v_mov_b32_e32 v109, v104
	v_mul_f32_e32 v107, 0x3f763a35, v108
	v_fmac_f32_e32 v109, 0x3f763a35, v106
	v_add_f32_e32 v38, v109, v38
	v_fma_f32 v109, v105, s3, -v107
	v_add_f32_e32 v39, v109, v39
	v_mul_f32_e32 v109, 0x3f6eb680, v74
	v_mov_b32_e32 v110, v109
	v_fmac_f32_e32 v110, 0x3eb8f4ab, v106
	v_add_f32_e32 v41, v110, v41
	v_mul_f32_e32 v110, 0xbeb8f4ab, v108
	v_fmac_f32_e32 v109, 0xbeb8f4ab, v106
	v_add_f32_e32 v40, v109, v40
	v_fma_f32 v109, v105, s14, -v110
	v_add_f32_e32 v42, v109, v42
	v_mul_f32_e32 v109, 0xbf59a7d5, v74
	v_mov_b32_e32 v111, v110
	v_mov_b32_e32 v110, v109
	v_fmac_f32_e32 v110, 0x3f06c442, v106
	v_add_f32_e32 v45, v110, v45
	v_mul_f32_e32 v110, 0xbf06c442, v108
	v_fmac_f32_e32 v109, 0xbf06c442, v106
	v_add_f32_e32 v44, v109, v44
	v_fma_f32 v109, v105, s11, -v110
	v_fmac_f32_e32 v111, 0x3f6eb680, v105
	v_add_f32_e32 v46, v109, v46
	v_mul_f32_e32 v109, 0x3dbcf732, v74
	v_add_f32_e32 v43, v111, v43
	v_mov_b32_e32 v111, v110
	v_mov_b32_e32 v110, v109
	v_fmac_f32_e32 v110, 0xbf7ee86f, v106
	v_add_f32_e32 v49, v110, v49
	v_mul_f32_e32 v110, 0x3f7ee86f, v108
	v_fmac_f32_e32 v109, 0x3f7ee86f, v106
	v_add_f32_e32 v48, v109, v48
	v_fma_f32 v109, v105, s2, -v110
	v_fmac_f32_e32 v111, 0xbf59a7d5, v105
	v_add_f32_e32 v50, v109, v50
	v_mul_f32_e32 v109, 0x3f3d2fb0, v74
	v_add_f32_e32 v47, v111, v47
	v_mov_b32_e32 v111, v110
	v_mov_b32_e32 v110, v109
	v_fmac_f32_e32 v110, 0x3f2c7751, v106
	v_add_f32_e32 v53, v110, v53
	v_mul_f32_e32 v110, 0xbf2c7751, v108
	v_fmac_f32_e32 v109, 0xbf2c7751, v106
	v_add_f32_e32 v52, v109, v52
	v_fma_f32 v109, v105, s10, -v110
	v_add_f32_e32 v114, v109, v54
	v_mul_f32_e32 v54, 0xbf7ba420, v74
	v_mov_b32_e32 v109, v54
	v_fmac_f32_e32 v109, 0x3e3c28d5, v106
	v_add_f32_e32 v57, v109, v57
	v_mul_f32_e32 v109, 0xbe3c28d5, v108
	v_fmac_f32_e32 v54, 0xbe3c28d5, v106
	v_add_f32_e32 v56, v54, v56
	v_fma_f32 v54, v105, s15, -v109
	v_add_f32_e32 v58, v54, v58
	v_mul_f32_e32 v54, 0x3ee437d1, v74
	v_mov_b32_e32 v74, v54
	v_fmac_f32_e32 v74, 0xbf65296c, v106
	v_add_f32_e32 v61, v74, v61
	v_mul_f32_e32 v74, 0x3f65296c, v108
	v_mov_b32_e32 v108, v74
	v_fmac_f32_e32 v54, 0x3f65296c, v106
	v_fmac_f32_e32 v111, 0x3dbcf732, v105
	;; [unrolled: 1-line block ×3, first 2 shown]
	v_add_f32_e32 v33, v54, v33
	v_fma_f32 v54, v105, s4, -v74
	v_add_f32_e32 v74, v10, v20
	v_add_f32_e32 v51, v111, v51
	v_mov_b32_e32 v111, v110
	v_add_f32_e32 v62, v108, v62
	v_mul_f32_e32 v108, 0xbf59a7d5, v74
	v_fmac_f32_e32 v111, 0x3f3d2fb0, v105
	v_mov_b32_e32 v110, v109
	v_add_f32_e32 v32, v54, v32
	v_sub_f32_e32 v115, v10, v20
	v_sub_f32_e32 v112, v11, v21
	v_mov_b32_e32 v54, v108
	v_add_f32_e32 v55, v111, v55
	v_fmac_f32_e32 v110, 0xbf7ba420, v105
	v_add_f32_e32 v111, v11, v21
	v_mul_f32_e32 v109, 0xbf06c442, v115
	v_fmac_f32_e32 v54, 0xbf06c442, v112
	v_add_f32_e32 v59, v110, v59
	v_add_f32_e32 v34, v54, v34
	v_fma_f32 v54, v111, s11, -v109
	v_mul_f32_e32 v110, 0x3ee437d1, v74
	v_add_f32_e32 v35, v54, v35
	v_mov_b32_e32 v54, v110
	v_mul_f32_e32 v113, 0x3f65296c, v115
	v_fmac_f32_e32 v54, 0x3f65296c, v112
	v_add_f32_e32 v38, v54, v38
	v_fma_f32 v54, v111, s4, -v113
	v_add_f32_e32 v39, v54, v39
	v_mul_f32_e32 v54, 0x3dbcf732, v74
	v_mov_b32_e32 v116, v54
	v_fmac_f32_e32 v116, 0x3f7ee86f, v112
	v_add_f32_e32 v41, v116, v41
	v_mul_f32_e32 v116, 0xbf7ee86f, v115
	v_fmac_f32_e32 v54, 0xbf7ee86f, v112
	v_add_f32_e32 v40, v54, v40
	v_fma_f32 v54, v111, s2, -v116
	v_add_f32_e32 v42, v54, v42
	v_mul_f32_e32 v54, 0xbf1a4643, v74
	v_mov_b32_e32 v117, v116
	v_mov_b32_e32 v116, v54
	v_fmac_f32_e32 v116, 0xbf4c4adb, v112
	v_add_f32_e32 v45, v116, v45
	v_mul_f32_e32 v116, 0x3f4c4adb, v115
	v_fmac_f32_e32 v54, 0x3f4c4adb, v112
	v_add_f32_e32 v121, v54, v44
	v_fma_f32 v44, v111, s5, -v116
	v_add_f32_e32 v46, v44, v46
	v_mul_f32_e32 v44, 0x3f6eb680, v74
	v_mov_b32_e32 v54, v44
	v_fmac_f32_e32 v54, 0x3eb8f4ab, v112
	v_add_f32_e32 v122, v54, v49
	v_mul_f32_e32 v49, 0xbeb8f4ab, v115
	v_fmac_f32_e32 v44, 0xbeb8f4ab, v112
	v_add_f32_e32 v124, v44, v48
	v_fma_f32 v44, v111, s14, -v49
	v_mov_b32_e32 v54, v49
	v_add_f32_e32 v125, v44, v50
	v_mul_f32_e32 v44, 0xbf7ba420, v74
	v_mul_f32_e32 v50, 0xbe3c28d5, v115
	v_fmac_f32_e32 v54, 0x3f6eb680, v111
	v_mov_b32_e32 v48, v44
	v_mov_b32_e32 v49, v50
	v_fmac_f32_e32 v44, 0xbe3c28d5, v112
	v_add_f32_e32 v123, v54, v51
	v_fmac_f32_e32 v49, 0xbf7ba420, v111
	v_add_f32_e32 v54, v44, v52
	v_fma_f32 v44, v111, s15, -v50
	v_fmac_f32_e32 v48, 0x3e3c28d5, v112
	v_add_f32_e32 v49, v49, v55
	v_add_f32_e32 v55, v44, v114
	v_mul_f32_e32 v44, 0x3f3d2fb0, v74
	v_add_f32_e32 v48, v48, v53
	v_mov_b32_e32 v50, v44
	v_mul_f32_e32 v53, 0x3f2c7751, v115
	v_fmac_f32_e32 v44, 0x3f2c7751, v112
	v_mov_b32_e32 v51, v53
	v_add_f32_e32 v52, v44, v56
	v_fma_f32 v44, v111, s10, -v53
	v_fmac_f32_e32 v117, 0x3dbcf732, v111
	v_fmac_f32_e32 v51, 0x3f3d2fb0, v111
	v_add_f32_e32 v53, v44, v58
	v_mul_f32_e32 v44, 0xbe8c1d8e, v74
	v_add_f32_e32 v43, v117, v43
	v_mov_b32_e32 v117, v116
	v_add_f32_e32 v51, v51, v59
	v_mov_b32_e32 v56, v44
	v_mul_f32_e32 v59, 0xbf763a35, v115
	v_fmac_f32_e32 v44, 0xbf763a35, v112
	v_add_f32_e32 v120, v12, v14
	v_fmac_f32_e32 v117, 0xbf1a4643, v111
	v_fmac_f32_e32 v50, 0xbf2c7751, v112
	v_add_f32_e32 v58, v44, v33
	v_fma_f32 v33, v111, s3, -v59
	v_mul_f32_e32 v114, 0xbf7ba420, v120
	v_add_f32_e32 v47, v117, v47
	v_add_f32_e32 v50, v50, v57
	v_mov_b32_e32 v57, v59
	v_add_f32_e32 v59, v33, v32
	v_sub_f32_e32 v74, v12, v14
	v_sub_f32_e32 v117, v13, v15
	v_mov_b32_e32 v32, v114
	v_fmac_f32_e32 v56, 0x3f763a35, v112
	v_add_f32_e32 v116, v13, v15
	v_mul_f32_e32 v115, 0xbe3c28d5, v74
	v_fmac_f32_e32 v32, 0xbe3c28d5, v117
	v_add_f32_e32 v56, v56, v61
	v_fmac_f32_e32 v57, 0xbe8c1d8e, v111
	v_add_f32_e32 v61, v32, v34
	v_fma_f32 v32, v116, s15, -v115
	v_mul_f32_e32 v118, 0x3f6eb680, v120
	v_add_f32_e32 v57, v57, v62
	v_add_f32_e32 v62, v32, v35
	v_mov_b32_e32 v32, v118
	v_mul_f32_e32 v119, 0x3eb8f4ab, v74
	v_fmac_f32_e32 v32, 0x3eb8f4ab, v117
	v_add_f32_e32 v34, v32, v38
	v_fma_f32 v32, v116, s14, -v119
	v_add_f32_e32 v35, v32, v39
	v_mul_f32_e32 v32, 0xbf59a7d5, v120
	v_mov_b32_e32 v33, v32
	v_fmac_f32_e32 v32, 0xbf06c442, v117
	v_fmac_f32_e32 v33, 0x3f06c442, v117
	v_add_f32_e32 v32, v32, v40
	v_mul_f32_e32 v40, 0x3f3d2fb0, v120
	v_add_f32_e32 v38, v33, v41
	v_mov_b32_e32 v41, v40
	v_mul_f32_e32 v33, 0xbf06c442, v74
	v_fmac_f32_e32 v41, 0xbf2c7751, v117
	v_mov_b32_e32 v39, v33
	v_fma_f32 v33, v116, s11, -v33
	v_add_f32_e32 v44, v41, v45
	v_mul_f32_e32 v41, 0x3f2c7751, v74
	v_add_f32_e32 v33, v33, v42
	v_mov_b32_e32 v42, v41
	v_fmac_f32_e32 v42, 0x3f3d2fb0, v116
	v_fmac_f32_e32 v40, 0x3f2c7751, v117
	;; [unrolled: 1-line block ×3, first 2 shown]
	v_add_f32_e32 v45, v42, v47
	v_add_f32_e32 v42, v40, v121
	v_fma_f32 v40, v116, s10, -v41
	v_add_f32_e32 v39, v39, v43
	v_add_f32_e32 v43, v40, v46
	v_mul_f32_e32 v40, 0xbf1a4643, v120
	v_mov_b32_e32 v41, v40
	v_fmac_f32_e32 v41, 0x3f4c4adb, v117
	v_mul_f32_e32 v121, 0x3ee437d1, v120
	v_add_f32_e32 v46, v41, v122
	v_mov_b32_e32 v122, v121
	v_fmac_f32_e32 v122, 0xbf65296c, v117
	v_mul_f32_e32 v41, 0xbf4c4adb, v74
	v_add_f32_e32 v48, v122, v48
	v_mul_f32_e32 v122, 0x3f65296c, v74
	v_fmac_f32_e32 v121, 0x3f65296c, v117
	v_mov_b32_e32 v47, v41
	v_add_f32_e32 v54, v121, v54
	v_fma_f32 v121, v116, s4, -v122
	v_fmac_f32_e32 v47, 0xbf1a4643, v116
	v_add_f32_e32 v55, v121, v55
	v_mul_f32_e32 v121, 0xbe8c1d8e, v120
	v_add_f32_e32 v47, v47, v123
	v_mov_b32_e32 v123, v122
	v_mov_b32_e32 v122, v121
	v_fmac_f32_e32 v122, 0x3f763a35, v117
	v_add_f32_e32 v50, v122, v50
	v_mul_f32_e32 v122, 0xbf763a35, v74
	v_fmac_f32_e32 v121, 0xbf763a35, v117
	v_add_f32_e32 v52, v121, v52
	v_fma_f32 v121, v116, s3, -v122
	v_mul_f32_e32 v120, 0x3dbcf732, v120
	v_add_f32_e32 v53, v121, v53
	v_mov_b32_e32 v121, v120
	v_fmac_f32_e32 v123, 0x3ee437d1, v116
	v_fmac_f32_e32 v121, 0xbf7ee86f, v117
	v_mul_f32_e32 v74, 0x3f7ee86f, v74
	v_add_f32_e32 v49, v123, v49
	v_mov_b32_e32 v123, v122
	v_add_f32_e32 v56, v121, v56
	v_mov_b32_e32 v121, v74
	v_fmac_f32_e32 v40, 0xbf4c4adb, v117
	v_fma_f32 v41, v116, s5, -v41
	v_fmac_f32_e32 v123, 0xbe8c1d8e, v116
	v_fmac_f32_e32 v121, 0x3dbcf732, v116
	;; [unrolled: 1-line block ×3, first 2 shown]
	v_fma_f32 v74, v116, s2, -v74
	v_add_f32_e32 v40, v40, v124
	v_add_f32_e32 v41, v41, v125
	;; [unrolled: 1-line block ×6, first 2 shown]
	v_mul_lo_u16_e32 v74, 17, v69
	s_barrier
	s_and_saveexec_b64 s[2:3], vcc
	s_cbranch_execz .LBB0_7
; %bb.6:
	v_mul_f32_e32 v120, 0x3f6eb680, v76
	v_mul_f32_e32 v122, 0x3f3d2fb0, v76
	;; [unrolled: 1-line block ×3, first 2 shown]
	v_add_f32_e32 v75, v75, v76
	v_mul_f32_e32 v76, 0x3dbcf732, v82
	v_add_f32_e32 v76, v83, v76
	v_add_f32_e32 v75, v75, v1
	;; [unrolled: 1-line block ×3, first 2 shown]
	v_mul_f32_e32 v76, 0xbf1a4643, v88
	v_add_f32_e32 v76, v89, v76
	v_add_f32_e32 v75, v76, v75
	v_mul_f32_e32 v76, 0xbf7ba420, v93
	v_add_f32_e32 v76, v76, v95
	v_add_f32_e32 v75, v76, v75
	;; [unrolled: 3-line block ×5, first 2 shown]
	v_mul_f32_e32 v76, 0x3f6eb680, v116
	v_mul_f32_e32 v121, 0x3f6eb680, v77
	;; [unrolled: 1-line block ×4, first 2 shown]
	v_add_f32_e32 v76, v76, v119
	v_sub_f32_e32 v73, v122, v73
	v_mul_f32_e32 v123, 0x3f3d2fb0, v82
	v_mul_f32_e32 v82, 0x3ee437d1, v87
	;; [unrolled: 1-line block ×3, first 2 shown]
	v_add_f32_e32 v76, v76, v75
	v_add_f32_e32 v73, v73, v0
	v_sub_f32_e32 v75, v81, v80
	v_mul_f32_e32 v83, 0x3ee437d1, v88
	v_mul_f32_e32 v88, 0xbf7ee86f, v94
	v_mul_f32_e32 v94, 0xbe3c28d5, v94
	v_add_f32_e32 v73, v75, v73
	v_sub_f32_e32 v75, v87, v86
	v_mul_f32_e32 v89, 0x3dbcf732, v93
	v_mul_f32_e32 v93, 0xbf763a35, v100
	v_mul_f32_e32 v100, 0x3f06c442, v100
	v_add_f32_e32 v73, v75, v73
	v_sub_f32_e32 v75, v92, v94
	v_mul_f32_e32 v95, 0xbe8c1d8e, v99
	v_mul_f32_e32 v99, 0xbf4c4adb, v106
	v_mul_f32_e32 v106, 0x3f763a35, v106
	v_add_f32_e32 v73, v75, v73
	v_sub_f32_e32 v75, v98, v100
	v_mul_f32_e32 v101, 0xbf1a4643, v105
	v_mul_f32_e32 v105, 0xbf06c442, v112
	v_mul_f32_e32 v112, 0x3f65296c, v112
	v_add_f32_e32 v73, v75, v73
	v_sub_f32_e32 v75, v104, v106
	v_mul_f32_e32 v107, 0xbf59a7d5, v111
	v_mul_f32_e32 v111, 0xbe3c28d5, v117
	v_mul_f32_e32 v117, 0x3eb8f4ab, v117
	v_add_f32_e32 v73, v75, v73
	v_sub_f32_e32 v75, v110, v112
	v_add_f32_e32 v72, v72, v121
	v_sub_f32_e32 v71, v120, v71
	;; [unrolled: 2-line block ×3, first 2 shown]
	v_add_f32_e32 v72, v72, v1
	v_add_f32_e32 v71, v71, v0
	;; [unrolled: 1-line block ×24, first 2 shown]
	v_mul_f32_e32 v113, 0xbf7ba420, v116
	v_add_f32_e32 v72, v73, v72
	v_add_f32_e32 v73, v107, v109
	;; [unrolled: 1-line block ×9, first 2 shown]
	v_sub_f32_e32 v73, v77, v78
	v_add_f32_e32 v1, v15, v1
	v_add_f32_e32 v0, v14, v0
	v_add_f32_e32 v71, v73, v71
	v_sub_f32_e32 v73, v82, v84
	v_add_f32_e32 v1, v21, v1
	v_add_f32_e32 v0, v20, v0
	v_add_f32_e32 v71, v73, v71
	;; [unrolled: 4-line block ×7, first 2 shown]
	v_add_f32_e32 v1, v37, v1
	v_add_f32_e32 v0, v36, v0
	v_add_lshl_u32 v2, v68, v74, 3
	ds_write2_b64 v2, v[0:1], v[71:72] offset1:1
	ds_write2_b64 v2, v[75:76], v[38:39] offset0:2 offset1:3
	ds_write2_b64 v2, v[44:45], v[46:47] offset0:4 offset1:5
	;; [unrolled: 1-line block ×7, first 2 shown]
	ds_write_b64 v2, v[61:62] offset:128
.LBB0_7:
	s_or_b64 exec, exec, s[2:3]
	v_lshlrev_b32_e32 v0, 4, v69
	s_load_dwordx4 s[0:3], s[0:1], 0x0
	s_waitcnt lgkmcnt(0)
	s_barrier
	global_load_dwordx4 v[0:3], v0, s[8:9]
	v_add_lshl_u32 v19, v68, v69, 3
	ds_read2_b64 v[5:8], v19 offset1:17
	ds_read_b64 v[9:10], v19 offset:272
	v_lshl_add_u32 v18, v69, 3, v70
	s_waitcnt vmcnt(0) lgkmcnt(1)
	v_mul_f32_e32 v4, v8, v1
	v_mul_f32_e32 v11, v7, v1
	s_waitcnt lgkmcnt(0)
	v_mul_f32_e32 v12, v10, v3
	v_mul_f32_e32 v13, v9, v3
	v_fma_f32 v4, v7, v0, -v4
	v_fmac_f32_e32 v11, v8, v0
	v_fma_f32 v7, v9, v2, -v12
	v_fmac_f32_e32 v13, v10, v2
	v_add_f32_e32 v9, v4, v7
	v_sub_f32_e32 v10, v11, v13
	v_add_f32_e32 v12, v6, v11
	v_add_f32_e32 v11, v11, v13
	v_add_f32_e32 v8, v5, v4
	v_fma_f32 v36, -0.5, v9, v5
	v_fma_f32 v37, -0.5, v11, v6
	v_sub_f32_e32 v14, v4, v7
	v_add_f32_e32 v4, v8, v7
	v_mov_b32_e32 v6, v36
	v_mov_b32_e32 v7, v37
	v_add_f32_e32 v5, v12, v13
	v_fmac_f32_e32 v36, 0xbf5db3d7, v10
	v_fmac_f32_e32 v37, 0x3f5db3d7, v14
	;; [unrolled: 1-line block ×4, first 2 shown]
	ds_write_b64 v18, v[36:37] offset:272
	ds_write2_b64 v18, v[4:5], v[6:7] offset1:17
	s_waitcnt lgkmcnt(0)
	s_barrier
	s_and_saveexec_b64 s[4:5], vcc
	s_cbranch_execz .LBB0_9
; %bb.8:
	global_load_dwordx2 v[16:17], v64, s[6:7] offset:408
	s_add_u32 s8, s6, 0x198
	s_addc_u32 s9, s7, 0
	global_load_dwordx2 v[71:72], v64, s[8:9] offset:24
	global_load_dwordx2 v[83:84], v64, s[8:9] offset:48
	;; [unrolled: 1-line block ×15, first 2 shown]
	ds_read2_b64 v[8:11], v18 offset1:3
	ds_read2_b64 v[12:15], v18 offset0:6 offset1:9
	global_load_dwordx2 v[111:112], v64, s[8:9] offset:384
	ds_read2_b64 v[20:23], v18 offset0:12 offset1:15
	ds_read2_b64 v[24:27], v18 offset0:18 offset1:21
	;; [unrolled: 1-line block ×5, first 2 shown]
	s_waitcnt vmcnt(12) lgkmcnt(4)
	v_mul_f32_e32 v115, v21, v88
	s_waitcnt vmcnt(11)
	v_mul_f32_e32 v116, v23, v90
	s_waitcnt vmcnt(10) lgkmcnt(3)
	v_mul_f32_e32 v117, v25, v92
	s_waitcnt vmcnt(9)
	v_mul_f32_e32 v118, v27, v94
	;; [unrolled: 4-line block ×4, first 2 shown]
	v_mul_f32_e32 v73, v9, v17
	v_mul_f32_e32 v114, v8, v17
	v_fma_f32 v113, v8, v16, -v73
	v_fmac_f32_e32 v114, v9, v16
	v_mul_f32_e32 v8, v11, v72
	v_mul_f32_e32 v9, v10, v72
	v_mul_f32_e32 v16, v13, v84
	v_mul_f32_e32 v17, v12, v84
	v_mul_f32_e32 v73, v15, v86
	v_mul_f32_e32 v72, v14, v86
	v_mul_f32_e32 v84, v20, v88
	v_mul_f32_e32 v86, v22, v90
	v_mul_f32_e32 v88, v24, v92
	v_mul_f32_e32 v90, v26, v94
	v_mul_f32_e32 v92, v28, v96
	v_mul_f32_e32 v94, v30, v98
	v_mul_f32_e32 v96, v75, v100
	v_mul_f32_e32 v98, v77, v102
	v_fma_f32 v8, v10, v71, -v8
	v_fmac_f32_e32 v9, v11, v71
	v_fma_f32 v16, v12, v83, -v16
	v_fmac_f32_e32 v17, v13, v83
	;; [unrolled: 2-line block ×11, first 2 shown]
	ds_write2_b64 v18, v[113:114], v[8:9] offset1:3
	ds_write2_b64 v18, v[16:17], v[71:72] offset0:6 offset1:9
	ds_write2_b64 v18, v[83:84], v[85:86] offset0:12 offset1:15
	;; [unrolled: 1-line block ×5, first 2 shown]
	ds_read2_b64 v[8:11], v18 offset0:42 offset1:45
	s_waitcnt vmcnt(4) lgkmcnt(7)
	v_mul_f32_e32 v102, v80, v104
	v_mul_f32_e32 v100, v79, v104
	s_waitcnt vmcnt(3)
	v_mul_f32_e32 v104, v82, v106
	v_mul_f32_e32 v13, v81, v106
	v_fma_f32 v99, v79, v103, -v102
	v_fmac_f32_e32 v100, v80, v103
	v_fma_f32 v12, v81, v105, -v104
	v_fmac_f32_e32 v13, v82, v105
	ds_write2_b64 v18, v[99:100], v[12:13] offset0:36 offset1:39
	s_waitcnt vmcnt(2) lgkmcnt(1)
	v_mul_f32_e32 v12, v9, v108
	v_mul_f32_e32 v13, v8, v108
	v_fma_f32 v12, v8, v107, -v12
	v_fmac_f32_e32 v13, v9, v107
	ds_read_b64 v[8:9], v18 offset:384
	s_waitcnt vmcnt(1)
	v_mul_f32_e32 v14, v11, v110
	v_mul_f32_e32 v15, v10, v110
	v_fma_f32 v14, v10, v109, -v14
	v_fmac_f32_e32 v15, v11, v109
	s_waitcnt vmcnt(0) lgkmcnt(0)
	v_mul_f32_e32 v10, v9, v112
	v_mul_f32_e32 v11, v8, v112
	v_fma_f32 v10, v8, v111, -v10
	v_fmac_f32_e32 v11, v9, v111
	ds_write2_b64 v18, v[12:13], v[14:15] offset0:42 offset1:45
	ds_write_b64 v18, v[10:11] offset:384
.LBB0_9:
	s_or_b64 exec, exec, s[4:5]
	s_waitcnt lgkmcnt(0)
	s_barrier
	s_and_saveexec_b64 s[4:5], vcc
	s_cbranch_execz .LBB0_11
; %bb.10:
	ds_read2_b64 v[4:7], v18 offset1:3
	ds_read2_b64 v[36:39], v18 offset0:6 offset1:9
	ds_read2_b64 v[44:47], v18 offset0:12 offset1:15
	;; [unrolled: 1-line block ×7, first 2 shown]
	ds_read_b64 v[61:62], v18 offset:384
.LBB0_11:
	s_or_b64 exec, exec, s[4:5]
	s_waitcnt lgkmcnt(0)
	s_barrier
	s_and_saveexec_b64 s[4:5], vcc
	s_cbranch_execz .LBB0_13
; %bb.12:
	v_add_f32_e32 v101, v62, v7
	v_mul_f32_e32 v76, 0xbf7ba420, v101
	v_add_f32_e32 v104, v35, v37
	v_sub_f32_e32 v20, v6, v61
	v_mov_b32_e32 v8, v76
	v_mul_f32_e32 v77, 0x3f6eb680, v104
	v_fmac_f32_e32 v8, 0x3e3c28d5, v20
	v_sub_f32_e32 v21, v36, v34
	v_mov_b32_e32 v9, v77
	v_add_f32_e32 v107, v33, v39
	v_add_f32_e32 v8, v5, v8
	v_fmac_f32_e32 v9, 0xbeb8f4ab, v21
	v_mul_f32_e32 v78, 0xbf59a7d5, v107
	v_add_f32_e32 v8, v9, v8
	v_sub_f32_e32 v22, v38, v32
	v_mov_b32_e32 v9, v78
	v_sub_f32_e32 v110, v44, v42
	v_fmac_f32_e32 v9, 0x3f06c442, v22
	v_add_f32_e32 v23, v45, v43
	v_mul_f32_e32 v80, 0x3f2c7751, v110
	s_mov_b32 s14, 0x3f3d2fb0
	v_sub_f32_e32 v112, v46, v40
	v_add_f32_e32 v8, v9, v8
	v_fma_f32 v9, v23, s14, -v80
	v_add_f32_e32 v24, v47, v41
	v_mul_f32_e32 v81, 0xbf4c4adb, v112
	s_mov_b32 s11, 0xbf1a4643
	v_sub_f32_e32 v118, v48, v54
	v_add_f32_e32 v8, v9, v8
	v_fma_f32 v9, v24, s11, -v81
	;; [unrolled: 6-line block ×5, first 2 shown]
	v_mul_f32_e32 v84, 0xbe3c28d5, v125
	v_sub_f32_e32 v126, v37, v35
	v_add_f32_e32 v9, v9, v8
	v_add_f32_e32 v28, v61, v6
	v_mov_b32_e32 v8, v84
	v_mul_f32_e32 v85, 0x3eb8f4ab, v126
	v_fmac_f32_e32 v8, 0xbf7ba420, v28
	v_add_f32_e32 v29, v34, v36
	v_mov_b32_e32 v10, v85
	v_sub_f32_e32 v127, v39, v33
	v_add_f32_e32 v8, v4, v8
	v_fmac_f32_e32 v10, 0x3f6eb680, v29
	v_mul_f32_e32 v86, 0xbf06c442, v127
	v_add_f32_e32 v8, v10, v8
	v_add_f32_e32 v30, v32, v38
	v_mov_b32_e32 v10, v86
	v_sub_f32_e32 v128, v45, v43
	v_fmac_f32_e32 v10, 0xbf59a7d5, v30
	v_mul_f32_e32 v87, 0x3f2c7751, v128
	v_add_f32_e32 v8, v10, v8
	v_add_f32_e32 v31, v44, v42
	v_mov_b32_e32 v10, v87
	v_sub_f32_e32 v129, v47, v41
	;; [unrolled: 6-line block ×5, first 2 shown]
	v_fmac_f32_e32 v10, 0xbe8c1d8e, v73
	v_mul_f32_e32 v93, 0x3f7ee86f, v131
	v_add_f32_e32 v8, v10, v8
	v_add_f32_e32 v75, v56, v58
	v_mov_b32_e32 v10, v93
	v_fmac_f32_e32 v10, 0x3dbcf732, v75
	v_mul_f32_e32 v94, 0xbf59a7d5, v101
	v_add_f32_e32 v8, v10, v8
	v_mov_b32_e32 v10, v94
	v_mul_f32_e32 v95, 0x3ee437d1, v104
	v_fmac_f32_e32 v10, 0x3f06c442, v20
	v_mov_b32_e32 v11, v95
	v_add_f32_e32 v10, v5, v10
	v_fmac_f32_e32 v11, 0xbf65296c, v21
	v_mul_f32_e32 v96, 0x3dbcf732, v107
	v_add_f32_e32 v10, v11, v10
	v_mov_b32_e32 v11, v96
	v_fmac_f32_e32 v11, 0x3f7ee86f, v22
	v_mul_f32_e32 v97, 0x3f4c4adb, v110
	s_mov_b32 s10, 0x3f6eb680
	v_add_f32_e32 v10, v11, v10
	v_fma_f32 v11, v23, s11, -v97
	v_mul_f32_e32 v98, 0xbeb8f4ab, v112
	s_mov_b32 s8, 0xbf7ba420
	v_add_f32_e32 v10, v11, v10
	v_fma_f32 v11, v24, s10, -v98
	v_mul_f32_e32 v99, 0xbe3c28d5, v118
	v_add_f32_e32 v10, v11, v10
	v_fma_f32 v11, v25, s8, -v99
	v_mul_f32_e32 v100, 0x3f2c7751, v124
	;; [unrolled: 3-line block ×4, first 2 shown]
	v_add_f32_e32 v11, v11, v10
	v_mov_b32_e32 v10, v103
	v_mul_f32_e32 v105, 0x3f65296c, v126
	v_fmac_f32_e32 v10, 0xbf59a7d5, v28
	v_mov_b32_e32 v12, v105
	v_add_f32_e32 v10, v4, v10
	v_fmac_f32_e32 v12, 0x3ee437d1, v29
	v_mul_f32_e32 v106, 0xbf7ee86f, v127
	v_add_f32_e32 v10, v12, v10
	v_mov_b32_e32 v12, v106
	v_fmac_f32_e32 v12, 0x3dbcf732, v30
	v_mul_f32_e32 v108, 0x3f4c4adb, v128
	v_add_f32_e32 v10, v12, v10
	v_mov_b32_e32 v12, v108
	;; [unrolled: 4-line block ×7, first 2 shown]
	v_mul_f32_e32 v116, 0xbe8c1d8e, v104
	v_fmac_f32_e32 v12, 0x3f4c4adb, v20
	v_mov_b32_e32 v13, v116
	v_add_f32_e32 v12, v5, v12
	v_fmac_f32_e32 v13, 0xbf763a35, v21
	v_mul_f32_e32 v117, 0x3f6eb680, v107
	v_add_f32_e32 v12, v13, v12
	v_mov_b32_e32 v13, v117
	s_mov_b32 s9, 0xbf59a7d5
	v_fmac_f32_e32 v13, 0x3eb8f4ab, v22
	v_mul_f32_e32 v119, 0xbf06c442, v110
	v_add_f32_e32 v12, v13, v12
	v_fma_f32 v13, v23, s9, -v119
	v_mul_f32_e32 v120, 0x3f7ee86f, v112
	v_add_f32_e32 v12, v13, v12
	v_fma_f32 v13, v24, s17, -v120
	;; [unrolled: 3-line block ×4, first 2 shown]
	v_mul_f32_e32 v123, 0xbf4c4adb, v125
	v_add_f32_e32 v7, v7, v5
	v_add_f32_e32 v12, v13, v12
	v_mov_b32_e32 v13, v123
	v_add_f32_e32 v7, v37, v7
	v_mul_f32_e32 v133, 0x3f763a35, v126
	v_fmac_f32_e32 v13, 0xbf1a4643, v28
	v_add_f32_e32 v14, v39, v7
	v_mov_b32_e32 v7, v133
	v_add_f32_e32 v13, v4, v13
	v_fmac_f32_e32 v7, 0xbe8c1d8e, v29
	v_mul_f32_e32 v134, 0xbeb8f4ab, v127
	v_add_f32_e32 v7, v7, v13
	v_mov_b32_e32 v13, v134
	v_add_f32_e32 v6, v6, v4
	v_fmac_f32_e32 v13, 0x3f6eb680, v30
	v_mul_f32_e32 v135, 0xbf06c442, v128
	v_add_f32_e32 v6, v36, v6
	v_add_f32_e32 v7, v13, v7
	v_mov_b32_e32 v13, v135
	v_mul_f32_e32 v102, 0x3f65296c, v91
	v_add_f32_e32 v6, v38, v6
	v_fmac_f32_e32 v13, 0xbf59a7d5, v31
	v_add_f32_e32 v13, v13, v7
	v_fma_f32 v7, v27, s15, -v102
	v_add_f32_e32 v6, v44, v6
	v_mul_f32_e32 v44, 0x3f7ee86f, v129
	v_add_f32_e32 v7, v7, v12
	v_add_f32_e32 v12, v45, v14
	;; [unrolled: 1-line block ×3, first 2 shown]
	v_mov_b32_e32 v6, v44
	v_fmac_f32_e32 v6, 0x3dbcf732, v71
	v_mul_f32_e32 v45, 0xbf2c7751, v130
	v_add_f32_e32 v6, v6, v13
	v_mov_b32_e32 v13, v45
	v_fmac_f32_e32 v13, 0x3f3d2fb0, v72
	v_mul_f32_e32 v46, 0xbe3c28d5, v132
	v_add_f32_e32 v6, v13, v6
	v_mov_b32_e32 v13, v46
	v_add_f32_e32 v12, v47, v12
	v_fmac_f32_e32 v13, 0xbf7ba420, v73
	v_mul_f32_e32 v47, 0x3f65296c, v131
	v_add_f32_e32 v6, v13, v6
	v_mov_b32_e32 v13, v47
	v_fmac_f32_e32 v13, 0x3ee437d1, v75
	v_mul_f32_e32 v136, 0xbe8c1d8e, v101
	v_add_f32_e32 v6, v13, v6
	v_add_f32_e32 v13, v48, v14
	v_mov_b32_e32 v14, v136
	v_mul_f32_e32 v48, 0xbf59a7d5, v104
	v_fmac_f32_e32 v14, 0x3f763a35, v20
	v_mov_b32_e32 v15, v48
	v_add_f32_e32 v12, v49, v12
	v_add_f32_e32 v14, v5, v14
	v_fmac_f32_e32 v15, 0xbf06c442, v21
	v_mul_f32_e32 v49, 0x3f3d2fb0, v107
	v_add_f32_e32 v14, v15, v14
	v_mov_b32_e32 v15, v49
	v_add_f32_e32 v13, v50, v13
	v_fmac_f32_e32 v15, 0xbf2c7751, v22
	v_mul_f32_e32 v50, 0xbf65296c, v110
	v_add_f32_e32 v12, v51, v12
	v_add_f32_e32 v14, v15, v14
	v_fma_f32 v15, v23, s15, -v50
	v_mul_f32_e32 v51, 0xbe3c28d5, v112
	v_add_f32_e32 v14, v15, v14
	v_add_f32_e32 v13, v56, v13
	v_fma_f32 v15, v24, s8, -v51
	;; [unrolled: 4-line block ×4, first 2 shown]
	v_mul_f32_e32 v58, 0xbf763a35, v125
	v_add_f32_e32 v14, v15, v14
	v_add_f32_e32 v13, v52, v13
	v_mov_b32_e32 v15, v58
	v_mul_f32_e32 v52, 0x3f06c442, v126
	v_add_f32_e32 v12, v59, v12
	v_fmac_f32_e32 v15, 0xbe8c1d8e, v28
	v_mov_b32_e32 v16, v52
	v_add_f32_e32 v12, v53, v12
	v_add_f32_e32 v15, v4, v15
	v_fmac_f32_e32 v16, 0xbf59a7d5, v29
	v_mul_f32_e32 v53, 0x3f2c7751, v127
	v_add_f32_e32 v13, v54, v13
	v_add_f32_e32 v15, v16, v15
	v_mov_b32_e32 v16, v53
	v_add_f32_e32 v12, v55, v12
	v_fmac_f32_e32 v16, 0x3f3d2fb0, v30
	v_add_f32_e32 v13, v40, v13
	v_mul_f32_e32 v55, 0xbf65296c, v128
	v_add_f32_e32 v15, v16, v15
	v_add_f32_e32 v16, v42, v13
	v_mov_b32_e32 v13, v55
	v_fmac_f32_e32 v13, 0x3ee437d1, v31
	v_mul_f32_e32 v59, 0xbe3c28d5, v129
	v_add_f32_e32 v13, v13, v15
	v_mov_b32_e32 v15, v59
	v_fmac_f32_e32 v15, 0xbf7ba420, v71
	v_mul_f32_e32 v137, 0x3f7ee86f, v130
	v_add_f32_e32 v12, v41, v12
	v_add_f32_e32 v13, v15, v13
	v_mov_b32_e32 v15, v137
	v_mul_f32_e32 v54, 0xbf4c4adb, v91
	v_add_f32_e32 v12, v43, v12
	v_fmac_f32_e32 v15, 0x3dbcf732, v72
	v_add_f32_e32 v15, v15, v13
	v_fma_f32 v13, v27, s11, -v54
	v_add_f32_e32 v12, v33, v12
	v_add_f32_e32 v13, v13, v14
	v_add_f32_e32 v14, v35, v12
	v_add_f32_e32 v12, v32, v16
	v_mul_f32_e32 v138, 0xbeb8f4ab, v132
	v_add_f32_e32 v16, v34, v12
	v_mov_b32_e32 v12, v138
	v_fmac_f32_e32 v12, 0x3f6eb680, v73
	v_mul_f32_e32 v139, 0xbf4c4adb, v131
	v_add_f32_e32 v12, v12, v15
	v_mov_b32_e32 v15, v139
	v_fmac_f32_e32 v15, 0xbf1a4643, v75
	;; [unrolled: 4-line block ×3, first 2 shown]
	v_add_f32_e32 v17, v5, v15
	v_add_f32_e32 v15, v62, v14
	;; [unrolled: 1-line block ×3, first 2 shown]
	v_mul_f32_e32 v61, 0xbf7ba420, v104
	v_mov_b32_e32 v16, v61
	v_fmac_f32_e32 v16, 0x3e3c28d5, v21
	v_mul_f32_e32 v62, 0xbe8c1d8e, v107
	v_add_f32_e32 v16, v16, v17
	v_mov_b32_e32 v17, v62
	v_fmac_f32_e32 v17, 0xbf763a35, v22
	v_mul_f32_e32 v141, 0x3eb8f4ab, v110
	v_add_f32_e32 v16, v17, v16
	v_fma_f32 v17, v23, s10, -v141
	v_mul_f32_e32 v142, 0xbf65296c, v112
	v_add_f32_e32 v16, v17, v16
	v_fma_f32 v17, v24, s15, -v142
	v_mul_f32_e32 v143, 0xbf06c442, v118
	v_add_f32_e32 v16, v17, v16
	v_fma_f32 v17, v25, s9, -v143
	v_mul_f32_e32 v144, 0x3f4c4adb, v124
	v_add_f32_e32 v16, v17, v16
	v_fma_f32 v17, v26, s11, -v144
	v_mul_f32_e32 v145, 0xbf7ee86f, v125
	v_add_f32_e32 v16, v17, v16
	v_mov_b32_e32 v17, v145
	v_mul_f32_e32 v146, 0xbe3c28d5, v126
	v_fmac_f32_e32 v17, 0x3dbcf732, v28
	v_mov_b32_e32 v32, v146
	v_add_f32_e32 v17, v4, v17
	v_fmac_f32_e32 v32, 0xbf7ba420, v29
	v_mul_f32_e32 v147, 0x3f763a35, v127
	v_add_f32_e32 v17, v32, v17
	v_mov_b32_e32 v32, v147
	v_fmac_f32_e32 v32, 0xbe8c1d8e, v30
	v_mul_f32_e32 v148, 0x3eb8f4ab, v128
	v_add_f32_e32 v17, v32, v17
	v_mov_b32_e32 v32, v148
	v_fmac_f32_e32 v32, 0x3f6eb680, v31
	v_mul_f32_e32 v149, 0xbf65296c, v129
	v_add_f32_e32 v17, v32, v17
	v_mov_b32_e32 v32, v149
	v_fmac_f32_e32 v32, 0x3ee437d1, v71
	v_mul_f32_e32 v150, 0xbf06c442, v130
	v_add_f32_e32 v17, v32, v17
	v_mov_b32_e32 v32, v150
	v_fmac_f32_e32 v32, 0xbf59a7d5, v72
	v_mul_f32_e32 v151, 0x3f4c4adb, v132
	v_add_f32_e32 v17, v32, v17
	v_mov_b32_e32 v32, v151
	v_fmac_f32_e32 v32, 0xbf1a4643, v73
	v_mul_f32_e32 v152, 0x3f2c7751, v91
	v_add_f32_e32 v32, v32, v17
	v_fma_f32 v17, v27, s14, -v152
	v_mul_f32_e32 v153, 0x3f2c7751, v131
	v_add_f32_e32 v17, v17, v16
	v_mov_b32_e32 v16, v153
	v_fmac_f32_e32 v16, 0x3f3d2fb0, v75
	v_mul_f32_e32 v154, 0x3ee437d1, v101
	v_add_f32_e32 v16, v16, v32
	v_mov_b32_e32 v32, v154
	v_mul_f32_e32 v155, 0xbf1a4643, v104
	v_fmac_f32_e32 v32, 0x3f65296c, v20
	v_mov_b32_e32 v33, v155
	v_add_f32_e32 v32, v5, v32
	v_fmac_f32_e32 v33, 0x3f4c4adb, v21
	v_mul_f32_e32 v156, 0xbf7ba420, v107
	v_add_f32_e32 v32, v33, v32
	v_mov_b32_e32 v33, v156
	v_fmac_f32_e32 v33, 0xbe3c28d5, v22
	v_mul_f32_e32 v157, 0x3f763a35, v110
	v_add_f32_e32 v32, v33, v32
	v_fma_f32 v33, v23, s16, -v157
	v_mul_f32_e32 v158, 0x3f2c7751, v112
	v_add_f32_e32 v32, v33, v32
	v_fma_f32 v33, v24, s14, -v158
	v_mul_f32_e32 v159, 0xbeb8f4ab, v118
	v_add_f32_e32 v32, v33, v32
	v_fma_f32 v33, v25, s10, -v159
	v_mul_f32_e32 v160, 0xbf7ee86f, v124
	v_add_f32_e32 v32, v33, v32
	v_fma_f32 v33, v26, s17, -v160
	v_mul_f32_e32 v161, 0xbf65296c, v125
	v_add_f32_e32 v32, v33, v32
	v_mov_b32_e32 v33, v161
	v_mul_f32_e32 v162, 0xbf4c4adb, v126
	v_fmac_f32_e32 v33, 0x3ee437d1, v28
	v_mov_b32_e32 v34, v162
	v_add_f32_e32 v33, v4, v33
	v_fmac_f32_e32 v34, 0xbf1a4643, v29
	v_mul_f32_e32 v163, 0x3e3c28d5, v127
	v_add_f32_e32 v33, v34, v33
	v_mov_b32_e32 v34, v163
	v_fmac_f32_e32 v34, 0xbf7ba420, v30
	v_mul_f32_e32 v164, 0x3f763a35, v128
	v_add_f32_e32 v33, v34, v33
	v_mov_b32_e32 v34, v164
	v_fmac_f32_e32 v34, 0xbe8c1d8e, v31
	v_mul_f32_e32 v165, 0x3f2c7751, v129
	v_add_f32_e32 v33, v34, v33
	v_mov_b32_e32 v34, v165
	v_fmac_f32_e32 v34, 0x3f3d2fb0, v71
	v_mul_f32_e32 v166, 0xbeb8f4ab, v130
	v_add_f32_e32 v33, v34, v33
	v_mov_b32_e32 v34, v166
	v_fmac_f32_e32 v34, 0x3f6eb680, v72
	v_mul_f32_e32 v167, 0xbf7ee86f, v132
	v_add_f32_e32 v33, v34, v33
	v_mov_b32_e32 v34, v167
	v_fmac_f32_e32 v34, 0x3dbcf732, v73
	v_mul_f32_e32 v168, 0xbf06c442, v91
	v_add_f32_e32 v34, v34, v33
	v_fma_f32 v33, v27, s9, -v168
	v_mul_f32_e32 v169, 0xbf06c442, v131
	v_add_f32_e32 v33, v33, v32
	v_mov_b32_e32 v32, v169
	v_fmac_f32_e32 v32, 0xbf59a7d5, v75
	v_mul_f32_e32 v170, 0x3f3d2fb0, v101
	v_add_f32_e32 v32, v32, v34
	v_mov_b32_e32 v34, v170
	v_mul_f32_e32 v171, 0x3dbcf732, v104
	v_fmac_f32_e32 v34, 0x3f2c7751, v20
	v_mov_b32_e32 v35, v171
	v_add_f32_e32 v34, v5, v34
	;; [unrolled: 59-line block ×3, first 2 shown]
	v_fmac_f32_e32 v37, 0x3f2c7751, v21
	v_mul_f32_e32 v107, 0x3ee437d1, v107
	v_add_f32_e32 v36, v37, v36
	v_mov_b32_e32 v37, v107
	v_fmac_f32_e32 v37, 0x3f65296c, v22
	v_mul_f32_e32 v110, 0xbf7ee86f, v110
	v_add_f32_e32 v36, v37, v36
	v_fma_f32 v37, v23, s17, -v110
	v_mul_f32_e32 v112, 0xbf763a35, v112
	v_add_f32_e32 v36, v37, v36
	v_fma_f32 v37, v24, s16, -v112
	;; [unrolled: 3-line block ×4, first 2 shown]
	v_mul_f32_e32 v125, 0xbeb8f4ab, v125
	v_add_f32_e32 v36, v37, v36
	v_mov_b32_e32 v37, v125
	v_mul_f32_e32 v126, 0xbf2c7751, v126
	v_fmac_f32_e32 v37, 0x3f6eb680, v28
	v_mov_b32_e32 v38, v126
	v_add_f32_e32 v37, v4, v37
	v_fmac_f32_e32 v38, 0x3f3d2fb0, v29
	v_mul_f32_e32 v127, 0xbf65296c, v127
	v_add_f32_e32 v37, v38, v37
	v_mov_b32_e32 v38, v127
	v_fmac_f32_e32 v38, 0x3ee437d1, v30
	v_mul_f32_e32 v128, 0xbf7ee86f, v128
	v_add_f32_e32 v37, v38, v37
	v_mov_b32_e32 v38, v128
	;; [unrolled: 4-line block ×5, first 2 shown]
	v_fmac_f32_e32 v38, 0xbf59a7d5, v73
	v_mul_f32_e32 v91, 0xbe3c28d5, v91
	v_add_f32_e32 v38, v38, v37
	v_fma_f32 v37, v27, s8, -v91
	v_mul_f32_e32 v131, 0xbe3c28d5, v131
	v_add_f32_e32 v37, v37, v36
	v_mov_b32_e32 v36, v131
	v_fmac_f32_e32 v36, 0xbf7ba420, v75
	v_fmac_f32_e32 v76, 0xbe3c28d5, v20
	v_add_f32_e32 v36, v36, v38
	v_add_f32_e32 v38, v5, v76
	v_fmac_f32_e32 v77, 0x3eb8f4ab, v21
	v_fma_f32 v39, v28, s8, -v84
	v_add_f32_e32 v38, v77, v38
	v_fmac_f32_e32 v78, 0xbf06c442, v22
	v_add_f32_e32 v39, v4, v39
	v_fma_f32 v40, v29, s10, -v85
	v_add_f32_e32 v38, v78, v38
	v_fmac_f32_e32 v80, 0x3f3d2fb0, v23
	v_add_f32_e32 v39, v40, v39
	v_fma_f32 v40, v30, s9, -v86
	v_add_f32_e32 v38, v80, v38
	v_fmac_f32_e32 v81, 0xbf1a4643, v24
	v_add_f32_e32 v39, v40, v39
	v_fma_f32 v40, v31, s14, -v87
	v_add_f32_e32 v38, v81, v38
	v_fmac_f32_e32 v82, 0x3ee437d1, v25
	v_add_f32_e32 v39, v40, v39
	v_fma_f32 v40, v71, s11, -v89
	v_add_f32_e32 v38, v82, v38
	v_fmac_f32_e32 v83, 0xbe8c1d8e, v26
	v_add_f32_e32 v39, v40, v39
	v_fma_f32 v40, v72, s15, -v90
	v_add_f32_e32 v38, v83, v38
	v_add_f32_e32 v39, v40, v39
	v_fma_f32 v40, v73, s16, -v92
	v_fmac_f32_e32 v79, 0x3dbcf732, v27
	v_add_f32_e32 v40, v40, v39
	v_add_f32_e32 v39, v79, v38
	v_fma_f32 v38, v75, s17, -v93
	v_fmac_f32_e32 v94, 0xbf06c442, v20
	v_add_f32_e32 v38, v38, v40
	v_add_f32_e32 v40, v5, v94
	v_fmac_f32_e32 v95, 0x3f65296c, v21
	v_fma_f32 v41, v28, s9, -v103
	v_add_f32_e32 v40, v95, v40
	v_fmac_f32_e32 v96, 0xbf7ee86f, v22
	v_add_f32_e32 v41, v4, v41
	v_fma_f32 v42, v29, s15, -v105
	v_add_f32_e32 v40, v96, v40
	v_fmac_f32_e32 v97, 0xbf1a4643, v23
	v_add_f32_e32 v41, v42, v41
	v_fma_f32 v42, v30, s17, -v106
	v_add_f32_e32 v40, v97, v40
	v_fmac_f32_e32 v98, 0x3f6eb680, v24
	v_add_f32_e32 v41, v42, v41
	v_fma_f32 v42, v31, s11, -v108
	v_add_f32_e32 v40, v98, v40
	v_fmac_f32_e32 v99, 0xbf7ba420, v25
	v_add_f32_e32 v41, v42, v41
	v_fma_f32 v42, v71, s10, -v109
	v_add_f32_e32 v40, v99, v40
	v_fmac_f32_e32 v100, 0x3f3d2fb0, v26
	v_add_f32_e32 v41, v42, v41
	v_fma_f32 v42, v72, s8, -v111
	v_add_f32_e32 v40, v100, v40
	v_add_f32_e32 v41, v42, v41
	v_fma_f32 v42, v73, s14, -v113
	v_fmac_f32_e32 v88, 0xbe8c1d8e, v27
	v_add_f32_e32 v42, v42, v41
	v_add_f32_e32 v41, v88, v40
	v_fma_f32 v40, v75, s16, -v114
	;; [unrolled: 32-line block ×3, first 2 shown]
	v_fmac_f32_e32 v136, 0xbf763a35, v20
	v_add_f32_e32 v42, v42, v44
	v_add_f32_e32 v44, v5, v136
	v_fmac_f32_e32 v48, 0x3f06c442, v21
	v_add_f32_e32 v44, v48, v44
	v_fmac_f32_e32 v49, 0x3f2c7751, v22
	;; [unrolled: 2-line block ×4, first 2 shown]
	v_fma_f32 v45, v28, s16, -v58
	v_add_f32_e32 v44, v51, v44
	v_fmac_f32_e32 v56, 0x3dbcf732, v25
	v_add_f32_e32 v45, v4, v45
	v_fma_f32 v46, v29, s9, -v52
	v_add_f32_e32 v44, v56, v44
	v_fmac_f32_e32 v57, 0x3f6eb680, v26
	v_add_f32_e32 v45, v46, v45
	v_fma_f32 v46, v30, s14, -v53
	v_add_f32_e32 v44, v57, v44
	v_add_f32_e32 v45, v46, v45
	v_fma_f32 v46, v31, s15, -v55
	v_fmac_f32_e32 v54, 0xbf1a4643, v27
	v_add_f32_e32 v46, v46, v45
	v_add_f32_e32 v45, v54, v44
	v_fma_f32 v44, v71, s8, -v59
	v_add_f32_e32 v44, v44, v46
	v_fma_f32 v46, v72, s17, -v137
	;; [unrolled: 2-line block ×4, first 2 shown]
	v_fmac_f32_e32 v140, 0xbf7ee86f, v20
	v_add_f32_e32 v44, v46, v44
	v_add_f32_e32 v46, v5, v140
	v_fmac_f32_e32 v61, 0xbe3c28d5, v21
	v_add_f32_e32 v46, v61, v46
	v_fmac_f32_e32 v62, 0x3f763a35, v22
	;; [unrolled: 2-line block ×7, first 2 shown]
	v_add_f32_e32 v47, v152, v46
	v_fma_f32 v46, v28, s17, -v145
	v_add_f32_e32 v46, v4, v46
	v_fma_f32 v48, v29, s8, -v146
	;; [unrolled: 2-line block ×8, first 2 shown]
	v_fmac_f32_e32 v154, 0xbf65296c, v20
	v_add_f32_e32 v46, v48, v46
	v_add_f32_e32 v48, v5, v154
	v_fmac_f32_e32 v155, 0xbf4c4adb, v21
	v_add_f32_e32 v48, v155, v48
	v_fmac_f32_e32 v156, 0x3e3c28d5, v22
	v_add_f32_e32 v48, v156, v48
	v_fmac_f32_e32 v157, 0xbe8c1d8e, v23
	v_add_f32_e32 v48, v157, v48
	v_fmac_f32_e32 v158, 0x3f3d2fb0, v24
	v_add_f32_e32 v48, v158, v48
	v_fmac_f32_e32 v159, 0x3f6eb680, v25
	v_add_f32_e32 v48, v159, v48
	v_fmac_f32_e32 v160, 0x3dbcf732, v26
	v_add_f32_e32 v48, v160, v48
	v_fmac_f32_e32 v168, 0xbf59a7d5, v27
	v_add_f32_e32 v49, v168, v48
	v_fma_f32 v48, v28, s15, -v161
	v_add_f32_e32 v48, v4, v48
	v_fma_f32 v50, v29, s11, -v162
	;; [unrolled: 2-line block ×8, first 2 shown]
	v_fmac_f32_e32 v170, 0xbf2c7751, v20
	v_add_f32_e32 v48, v50, v48
	v_add_f32_e32 v50, v5, v170
	v_fmac_f32_e32 v171, 0xbf7ee86f, v21
	v_add_f32_e32 v50, v171, v50
	v_fmac_f32_e32 v172, 0xbf4c4adb, v22
	;; [unrolled: 2-line block ×7, first 2 shown]
	v_add_f32_e32 v51, v184, v50
	v_fma_f32 v50, v28, s14, -v177
	v_fmac_f32_e32 v101, 0xbeb8f4ab, v20
	v_fma_f32 v20, v28, s10, -v125
	v_add_f32_e32 v50, v4, v50
	v_add_f32_e32 v4, v4, v20
	v_fma_f32 v20, v29, s14, -v126
	v_fma_f32 v52, v29, s17, -v178
	v_add_f32_e32 v5, v5, v101
	v_fmac_f32_e32 v104, 0xbf2c7751, v21
	v_add_f32_e32 v4, v20, v4
	v_fma_f32 v20, v30, s15, -v127
	v_add_f32_e32 v50, v52, v50
	v_fma_f32 v52, v30, s11, -v179
	v_add_f32_e32 v5, v104, v5
	v_fmac_f32_e32 v107, 0xbf65296c, v22
	v_add_f32_e32 v4, v20, v4
	v_fma_f32 v20, v31, s17, -v128
	v_add_f32_e32 v50, v52, v50
	;; [unrolled: 6-line block ×6, first 2 shown]
	v_fma_f32 v52, v75, s10, -v185
	v_add_f32_e32 v5, v124, v5
	v_fmac_f32_e32 v91, 0xbf7ba420, v27
	v_add_f32_e32 v4, v20, v4
	v_lshl_add_u32 v20, v74, 3, v70
	v_add_f32_e32 v50, v52, v50
	v_add_f32_e32 v5, v91, v5
	ds_write2_b64 v20, v[14:15], v[36:37] offset1:1
	ds_write2_b64 v20, v[34:35], v[32:33] offset0:2 offset1:3
	ds_write2_b64 v20, v[16:17], v[12:13] offset0:4 offset1:5
	ds_write2_b64 v20, v[6:7], v[10:11] offset0:6 offset1:7
	ds_write2_b64 v20, v[8:9], v[38:39] offset0:8 offset1:9
	ds_write2_b64 v20, v[40:41], v[42:43] offset0:10 offset1:11
	ds_write2_b64 v20, v[44:45], v[46:47] offset0:12 offset1:13
	ds_write2_b64 v20, v[48:49], v[50:51] offset0:14 offset1:15
	ds_write_b64 v20, v[4:5] offset:128
.LBB0_13:
	s_or_b64 exec, exec, s[4:5]
	s_waitcnt lgkmcnt(0)
	s_barrier
	ds_read2_b64 v[4:7], v19 offset1:17
	ds_read_b64 v[8:9], v19 offset:272
	s_waitcnt lgkmcnt(1)
	v_mul_f32_e32 v10, v1, v7
	v_mul_f32_e32 v1, v1, v6
	v_fmac_f32_e32 v10, v0, v6
	v_fma_f32 v6, v0, v7, -v1
	s_waitcnt lgkmcnt(0)
	v_mul_f32_e32 v7, v3, v9
	v_fmac_f32_e32 v7, v2, v8
	v_mul_f32_e32 v0, v3, v8
	v_add_f32_e32 v1, v10, v7
	v_fma_f32 v3, v2, v9, -v0
	v_fma_f32 v2, -0.5, v1, v4
	v_add_f32_e32 v0, v4, v10
	v_sub_f32_e32 v1, v6, v3
	v_mov_b32_e32 v4, v2
	v_fmac_f32_e32 v4, 0xbf5db3d7, v1
	v_fmac_f32_e32 v2, 0x3f5db3d7, v1
	v_add_f32_e32 v1, v5, v6
	v_add_f32_e32 v1, v1, v3
	;; [unrolled: 1-line block ×3, first 2 shown]
	v_fma_f32 v3, -0.5, v3, v5
	v_sub_f32_e32 v6, v10, v7
	v_mov_b32_e32 v5, v3
	v_add_f32_e32 v0, v0, v7
	v_fmac_f32_e32 v5, 0x3f5db3d7, v6
	v_fmac_f32_e32 v3, 0xbf5db3d7, v6
	ds_write2_b64 v18, v[0:1], v[4:5] offset1:17
	ds_write_b64 v18, v[2:3] offset:272
	s_waitcnt lgkmcnt(0)
	s_barrier
	s_and_b64 exec, exec, vcc
	s_cbranch_execz .LBB0_15
; %bb.14:
	global_load_dwordx2 v[0:1], v64, s[6:7]
	ds_read_b64 v[4:5], v18
	v_mad_u64_u32 v[2:3], s[4:5], s2, v60, 0
	v_mad_u64_u32 v[6:7], s[4:5], s0, v69, 0
	s_waitcnt lgkmcnt(0)
	v_mad_u64_u32 v[8:9], s[2:3], s3, v60, v[3:4]
	s_mov_b32 s4, 0x14141414
	s_mov_b32 s5, 0x3f941414
	v_mad_u64_u32 v[9:10], s[2:3], s1, v69, v[7:8]
	v_mov_b32_e32 v11, s13
	s_mul_i32 s3, s1, 24
	v_mov_b32_e32 v7, v9
	v_lshlrev_b64 v[6:7], 3, v[6:7]
	s_mul_hi_u32 s8, s0, 24
	s_mul_i32 s2, s0, 24
	s_add_i32 s3, s8, s3
	s_mul_hi_u32 s10, s0, 48
	s_waitcnt vmcnt(0)
	v_mul_f32_e32 v3, v5, v1
	v_mul_f32_e32 v1, v4, v1
	v_fmac_f32_e32 v3, v4, v0
	v_fma_f32 v4, v0, v5, -v1
	v_cvt_f64_f32_e32 v[0:1], v3
	v_cvt_f64_f32_e32 v[4:5], v4
	v_mov_b32_e32 v3, v8
	v_lshlrev_b64 v[2:3], 3, v[2:3]
	v_mul_f64 v[0:1], v[0:1], s[4:5]
	v_mul_f64 v[4:5], v[4:5], s[4:5]
	v_add_co_u32_e32 v9, vcc, s12, v2
	v_addc_co_u32_e32 v10, vcc, v11, v3, vcc
	v_lshl_add_u32 v11, v68, 3, v64
	v_cvt_f32_f64_e32 v0, v[0:1]
	v_cvt_f32_f64_e32 v1, v[4:5]
	v_add_co_u32_e32 v4, vcc, v9, v6
	v_addc_co_u32_e32 v5, vcc, v10, v7, vcc
	global_store_dwordx2 v[4:5], v[0:1], off
	global_load_dwordx2 v[6:7], v64, s[6:7] offset:24
	ds_read2_b64 v[0:3], v11 offset0:3 offset1:6
	v_add_co_u32_e32 v4, vcc, s2, v4
	s_waitcnt vmcnt(0) lgkmcnt(0)
	v_mul_f32_e32 v8, v1, v7
	v_mul_f32_e32 v7, v0, v7
	v_fmac_f32_e32 v8, v0, v6
	v_fma_f32 v6, v6, v1, -v7
	v_cvt_f64_f32_e32 v[0:1], v8
	v_cvt_f64_f32_e32 v[6:7], v6
	v_mov_b32_e32 v8, s3
	v_addc_co_u32_e32 v5, vcc, v5, v8, vcc
	v_mul_f64 v[0:1], v[0:1], s[4:5]
	v_mul_f64 v[6:7], v[6:7], s[4:5]
	v_cvt_f32_f64_e32 v0, v[0:1]
	v_cvt_f32_f64_e32 v1, v[6:7]
	global_store_dwordx2 v[4:5], v[0:1], off
	global_load_dwordx2 v[0:1], v64, s[6:7] offset:48
	v_add_co_u32_e32 v4, vcc, s2, v4
	s_waitcnt vmcnt(0)
	v_mul_f32_e32 v6, v3, v1
	v_mul_f32_e32 v1, v2, v1
	v_fmac_f32_e32 v6, v2, v0
	v_fma_f32 v2, v0, v3, -v1
	v_cvt_f64_f32_e32 v[0:1], v6
	v_cvt_f64_f32_e32 v[2:3], v2
	v_mov_b32_e32 v6, s3
	v_addc_co_u32_e32 v5, vcc, v5, v6, vcc
	v_mul_f64 v[0:1], v[0:1], s[4:5]
	v_mul_f64 v[2:3], v[2:3], s[4:5]
	v_cvt_f32_f64_e32 v0, v[0:1]
	v_cvt_f32_f64_e32 v1, v[2:3]
	global_store_dwordx2 v[4:5], v[0:1], off
	global_load_dwordx2 v[6:7], v64, s[6:7] offset:72
	ds_read2_b64 v[0:3], v11 offset0:9 offset1:12
	v_add_co_u32_e32 v4, vcc, s2, v4
	s_waitcnt vmcnt(0) lgkmcnt(0)
	v_mul_f32_e32 v8, v1, v7
	v_mul_f32_e32 v7, v0, v7
	v_fmac_f32_e32 v8, v0, v6
	v_fma_f32 v6, v6, v1, -v7
	v_cvt_f64_f32_e32 v[0:1], v8
	v_cvt_f64_f32_e32 v[6:7], v6
	v_mov_b32_e32 v8, s3
	v_addc_co_u32_e32 v5, vcc, v5, v8, vcc
	v_mul_f64 v[0:1], v[0:1], s[4:5]
	v_mul_f64 v[6:7], v[6:7], s[4:5]
	v_cvt_f32_f64_e32 v0, v[0:1]
	v_cvt_f32_f64_e32 v1, v[6:7]
	v_mad_u64_u32 v[6:7], s[8:9], s0, v67, 0
	global_store_dwordx2 v[4:5], v[0:1], off
	global_load_dwordx2 v[0:1], v64, s[6:7] offset:96
	s_waitcnt vmcnt(0)
	v_mul_f32_e32 v8, v3, v1
	v_mul_f32_e32 v1, v2, v1
	v_fmac_f32_e32 v8, v2, v0
	v_fma_f32 v2, v0, v3, -v1
	v_cvt_f64_f32_e32 v[0:1], v8
	v_cvt_f64_f32_e32 v[2:3], v2
	v_mad_u64_u32 v[7:8], s[8:9], s1, v67, v[7:8]
	v_mul_f64 v[0:1], v[0:1], s[4:5]
	v_mul_f64 v[2:3], v[2:3], s[4:5]
	v_lshlrev_b64 v[6:7], 3, v[6:7]
	s_mul_i32 s9, s1, 48
	s_mul_i32 s8, s0, 48
	s_add_i32 s9, s10, s9
	v_cvt_f32_f64_e32 v0, v[0:1]
	v_cvt_f32_f64_e32 v1, v[2:3]
	v_add_co_u32_e32 v2, vcc, v9, v6
	v_addc_co_u32_e32 v3, vcc, v10, v7, vcc
	global_store_dwordx2 v[2:3], v[0:1], off
	global_load_dwordx2 v[6:7], v64, s[6:7] offset:120
	ds_read2_b64 v[0:3], v11 offset0:15 offset1:18
	v_add_co_u32_e32 v4, vcc, s8, v4
	s_waitcnt vmcnt(0) lgkmcnt(0)
	v_mul_f32_e32 v8, v1, v7
	v_mul_f32_e32 v7, v0, v7
	v_fmac_f32_e32 v8, v0, v6
	v_fma_f32 v6, v6, v1, -v7
	v_cvt_f64_f32_e32 v[0:1], v8
	v_cvt_f64_f32_e32 v[6:7], v6
	v_mov_b32_e32 v8, s9
	v_addc_co_u32_e32 v5, vcc, v5, v8, vcc
	v_mul_f64 v[0:1], v[0:1], s[4:5]
	v_mul_f64 v[6:7], v[6:7], s[4:5]
	v_cvt_f32_f64_e32 v0, v[0:1]
	v_cvt_f32_f64_e32 v1, v[6:7]
	global_store_dwordx2 v[4:5], v[0:1], off
	global_load_dwordx2 v[0:1], v64, s[6:7] offset:144
	v_add_co_u32_e32 v4, vcc, s2, v4
	s_waitcnt vmcnt(0)
	v_mul_f32_e32 v6, v3, v1
	v_mul_f32_e32 v1, v2, v1
	v_fmac_f32_e32 v6, v2, v0
	v_fma_f32 v2, v0, v3, -v1
	v_cvt_f64_f32_e32 v[0:1], v6
	v_cvt_f64_f32_e32 v[2:3], v2
	v_mov_b32_e32 v6, s3
	v_addc_co_u32_e32 v5, vcc, v5, v6, vcc
	v_mul_f64 v[0:1], v[0:1], s[4:5]
	v_mul_f64 v[2:3], v[2:3], s[4:5]
	v_cvt_f32_f64_e32 v0, v[0:1]
	v_cvt_f32_f64_e32 v1, v[2:3]
	global_store_dwordx2 v[4:5], v[0:1], off
	global_load_dwordx2 v[6:7], v64, s[6:7] offset:168
	ds_read2_b64 v[0:3], v11 offset0:21 offset1:24
	v_add_co_u32_e32 v4, vcc, s2, v4
	s_waitcnt vmcnt(0) lgkmcnt(0)
	v_mul_f32_e32 v8, v1, v7
	v_mul_f32_e32 v7, v0, v7
	v_fmac_f32_e32 v8, v0, v6
	v_fma_f32 v6, v6, v1, -v7
	v_cvt_f64_f32_e32 v[0:1], v8
	v_cvt_f64_f32_e32 v[6:7], v6
	v_mov_b32_e32 v8, s3
	v_addc_co_u32_e32 v5, vcc, v5, v8, vcc
	v_mul_f64 v[0:1], v[0:1], s[4:5]
	v_mul_f64 v[6:7], v[6:7], s[4:5]
	v_cvt_f32_f64_e32 v0, v[0:1]
	v_cvt_f32_f64_e32 v1, v[6:7]
	v_mad_u64_u32 v[6:7], s[10:11], s0, v66, 0
	global_store_dwordx2 v[4:5], v[0:1], off
	global_load_dwordx2 v[0:1], v64, s[6:7] offset:192
	s_waitcnt vmcnt(0)
	v_mul_f32_e32 v8, v3, v1
	v_mul_f32_e32 v1, v2, v1
	v_fmac_f32_e32 v8, v2, v0
	v_fma_f32 v2, v0, v3, -v1
	v_cvt_f64_f32_e32 v[0:1], v8
	v_cvt_f64_f32_e32 v[2:3], v2
	v_mad_u64_u32 v[7:8], s[10:11], s1, v66, v[7:8]
	v_mul_f64 v[0:1], v[0:1], s[4:5]
	v_mul_f64 v[2:3], v[2:3], s[4:5]
	v_lshlrev_b64 v[6:7], 3, v[6:7]
	v_cvt_f32_f64_e32 v0, v[0:1]
	v_cvt_f32_f64_e32 v1, v[2:3]
	v_add_co_u32_e32 v2, vcc, v9, v6
	v_addc_co_u32_e32 v3, vcc, v10, v7, vcc
	global_store_dwordx2 v[2:3], v[0:1], off
	global_load_dwordx2 v[6:7], v64, s[6:7] offset:216
	ds_read2_b64 v[0:3], v11 offset0:27 offset1:30
	v_add_co_u32_e32 v4, vcc, s8, v4
	s_waitcnt vmcnt(0) lgkmcnt(0)
	v_mul_f32_e32 v8, v1, v7
	v_mul_f32_e32 v7, v0, v7
	v_fmac_f32_e32 v8, v0, v6
	v_fma_f32 v6, v6, v1, -v7
	v_cvt_f64_f32_e32 v[0:1], v8
	v_cvt_f64_f32_e32 v[6:7], v6
	v_mov_b32_e32 v8, s9
	v_addc_co_u32_e32 v5, vcc, v5, v8, vcc
	v_mul_f64 v[0:1], v[0:1], s[4:5]
	v_mul_f64 v[6:7], v[6:7], s[4:5]
	v_cvt_f32_f64_e32 v0, v[0:1]
	v_cvt_f32_f64_e32 v1, v[6:7]
	global_store_dwordx2 v[4:5], v[0:1], off
	global_load_dwordx2 v[0:1], v64, s[6:7] offset:240
	v_add_co_u32_e32 v4, vcc, s2, v4
	s_waitcnt vmcnt(0)
	v_mul_f32_e32 v6, v3, v1
	v_mul_f32_e32 v1, v2, v1
	v_fmac_f32_e32 v6, v2, v0
	v_fma_f32 v2, v0, v3, -v1
	v_cvt_f64_f32_e32 v[0:1], v6
	v_cvt_f64_f32_e32 v[2:3], v2
	v_mov_b32_e32 v6, s3
	v_addc_co_u32_e32 v5, vcc, v5, v6, vcc
	v_mul_f64 v[0:1], v[0:1], s[4:5]
	v_mul_f64 v[2:3], v[2:3], s[4:5]
	v_cvt_f32_f64_e32 v0, v[0:1]
	v_cvt_f32_f64_e32 v1, v[2:3]
	global_store_dwordx2 v[4:5], v[0:1], off
	global_load_dwordx2 v[6:7], v64, s[6:7] offset:264
	ds_read2_b64 v[0:3], v11 offset0:33 offset1:36
	v_add_co_u32_e32 v4, vcc, s2, v4
	s_waitcnt vmcnt(0) lgkmcnt(0)
	v_mul_f32_e32 v8, v1, v7
	v_mul_f32_e32 v7, v0, v7
	v_fmac_f32_e32 v8, v0, v6
	v_fma_f32 v6, v6, v1, -v7
	v_cvt_f64_f32_e32 v[0:1], v8
	v_cvt_f64_f32_e32 v[6:7], v6
	v_mov_b32_e32 v8, s3
	v_addc_co_u32_e32 v5, vcc, v5, v8, vcc
	v_mul_f64 v[0:1], v[0:1], s[4:5]
	v_mul_f64 v[6:7], v[6:7], s[4:5]
	v_cvt_f32_f64_e32 v0, v[0:1]
	v_cvt_f32_f64_e32 v1, v[6:7]
	v_mad_u64_u32 v[6:7], s[10:11], s0, v65, 0
	global_store_dwordx2 v[4:5], v[0:1], off
	global_load_dwordx2 v[0:1], v64, s[6:7] offset:288
	s_waitcnt vmcnt(0)
	v_mul_f32_e32 v8, v3, v1
	v_mul_f32_e32 v1, v2, v1
	v_fmac_f32_e32 v8, v2, v0
	v_fma_f32 v2, v0, v3, -v1
	v_cvt_f64_f32_e32 v[0:1], v8
	v_cvt_f64_f32_e32 v[2:3], v2
	v_mad_u64_u32 v[7:8], s[10:11], s1, v65, v[7:8]
	v_mul_f64 v[0:1], v[0:1], s[4:5]
	v_mul_f64 v[2:3], v[2:3], s[4:5]
	v_lshlrev_b64 v[6:7], 3, v[6:7]
	v_cvt_f32_f64_e32 v0, v[0:1]
	v_cvt_f32_f64_e32 v1, v[2:3]
	v_add_co_u32_e32 v2, vcc, v9, v6
	v_addc_co_u32_e32 v3, vcc, v10, v7, vcc
	global_store_dwordx2 v[2:3], v[0:1], off
	global_load_dwordx2 v[6:7], v64, s[6:7] offset:312
	ds_read2_b64 v[0:3], v11 offset0:39 offset1:42
	v_add_co_u32_e32 v4, vcc, s8, v4
	s_waitcnt vmcnt(0) lgkmcnt(0)
	v_mul_f32_e32 v8, v1, v7
	v_mul_f32_e32 v7, v0, v7
	v_fmac_f32_e32 v8, v0, v6
	v_fma_f32 v6, v6, v1, -v7
	v_cvt_f64_f32_e32 v[0:1], v8
	v_cvt_f64_f32_e32 v[6:7], v6
	v_mov_b32_e32 v8, s9
	v_addc_co_u32_e32 v5, vcc, v5, v8, vcc
	v_mul_f64 v[0:1], v[0:1], s[4:5]
	v_mul_f64 v[6:7], v[6:7], s[4:5]
	v_cvt_f32_f64_e32 v0, v[0:1]
	v_cvt_f32_f64_e32 v1, v[6:7]
	global_store_dwordx2 v[4:5], v[0:1], off
	global_load_dwordx2 v[0:1], v64, s[6:7] offset:336
	v_add_co_u32_e32 v4, vcc, s2, v4
	s_waitcnt vmcnt(0)
	v_mul_f32_e32 v6, v3, v1
	v_mul_f32_e32 v1, v2, v1
	v_fmac_f32_e32 v6, v2, v0
	v_fma_f32 v2, v0, v3, -v1
	v_cvt_f64_f32_e32 v[0:1], v6
	v_cvt_f64_f32_e32 v[2:3], v2
	v_mov_b32_e32 v6, s3
	v_addc_co_u32_e32 v5, vcc, v5, v6, vcc
	v_mul_f64 v[0:1], v[0:1], s[4:5]
	v_mul_f64 v[2:3], v[2:3], s[4:5]
	v_cvt_f32_f64_e32 v0, v[0:1]
	v_cvt_f32_f64_e32 v1, v[2:3]
	global_store_dwordx2 v[4:5], v[0:1], off
	global_load_dwordx2 v[6:7], v64, s[6:7] offset:360
	ds_read2_b64 v[0:3], v11 offset0:45 offset1:48
	v_add_co_u32_e32 v4, vcc, s2, v4
	s_waitcnt vmcnt(0) lgkmcnt(0)
	v_mul_f32_e32 v8, v1, v7
	v_mul_f32_e32 v7, v0, v7
	v_fmac_f32_e32 v8, v0, v6
	v_fma_f32 v6, v6, v1, -v7
	v_cvt_f64_f32_e32 v[0:1], v8
	v_cvt_f64_f32_e32 v[6:7], v6
	v_mov_b32_e32 v8, s3
	v_addc_co_u32_e32 v5, vcc, v5, v8, vcc
	v_mul_f64 v[0:1], v[0:1], s[4:5]
	v_mul_f64 v[6:7], v[6:7], s[4:5]
	v_cvt_f32_f64_e32 v0, v[0:1]
	v_cvt_f32_f64_e32 v1, v[6:7]
	global_store_dwordx2 v[4:5], v[0:1], off
	global_load_dwordx2 v[0:1], v64, s[6:7] offset:384
	v_mad_u64_u32 v[4:5], s[2:3], s0, v63, 0
	s_waitcnt vmcnt(0)
	v_mul_f32_e32 v6, v3, v1
	v_mul_f32_e32 v1, v2, v1
	v_fmac_f32_e32 v6, v2, v0
	v_fma_f32 v2, v0, v3, -v1
	v_cvt_f64_f32_e32 v[0:1], v6
	v_cvt_f64_f32_e32 v[2:3], v2
	v_mad_u64_u32 v[5:6], s[0:1], s1, v63, v[5:6]
	v_mul_f64 v[0:1], v[0:1], s[4:5]
	v_mul_f64 v[2:3], v[2:3], s[4:5]
	v_lshlrev_b64 v[4:5], 3, v[4:5]
	v_cvt_f32_f64_e32 v0, v[0:1]
	v_cvt_f32_f64_e32 v1, v[2:3]
	v_add_co_u32_e32 v2, vcc, v9, v4
	v_addc_co_u32_e32 v3, vcc, v10, v5, vcc
	global_store_dwordx2 v[2:3], v[0:1], off
.LBB0_15:
	s_endpgm
	.section	.rodata,"a",@progbits
	.p2align	6, 0x0
	.amdhsa_kernel bluestein_single_back_len51_dim1_sp_op_CI_CI
		.amdhsa_group_segment_fixed_size 6120
		.amdhsa_private_segment_fixed_size 0
		.amdhsa_kernarg_size 104
		.amdhsa_user_sgpr_count 6
		.amdhsa_user_sgpr_private_segment_buffer 1
		.amdhsa_user_sgpr_dispatch_ptr 0
		.amdhsa_user_sgpr_queue_ptr 0
		.amdhsa_user_sgpr_kernarg_segment_ptr 1
		.amdhsa_user_sgpr_dispatch_id 0
		.amdhsa_user_sgpr_flat_scratch_init 0
		.amdhsa_user_sgpr_private_segment_size 0
		.amdhsa_uses_dynamic_stack 0
		.amdhsa_system_sgpr_private_segment_wavefront_offset 0
		.amdhsa_system_sgpr_workgroup_id_x 1
		.amdhsa_system_sgpr_workgroup_id_y 0
		.amdhsa_system_sgpr_workgroup_id_z 0
		.amdhsa_system_sgpr_workgroup_info 0
		.amdhsa_system_vgpr_workitem_id 0
		.amdhsa_next_free_vgpr 186
		.amdhsa_next_free_sgpr 18
		.amdhsa_reserve_vcc 1
		.amdhsa_reserve_flat_scratch 0
		.amdhsa_float_round_mode_32 0
		.amdhsa_float_round_mode_16_64 0
		.amdhsa_float_denorm_mode_32 3
		.amdhsa_float_denorm_mode_16_64 3
		.amdhsa_dx10_clamp 1
		.amdhsa_ieee_mode 1
		.amdhsa_fp16_overflow 0
		.amdhsa_exception_fp_ieee_invalid_op 0
		.amdhsa_exception_fp_denorm_src 0
		.amdhsa_exception_fp_ieee_div_zero 0
		.amdhsa_exception_fp_ieee_overflow 0
		.amdhsa_exception_fp_ieee_underflow 0
		.amdhsa_exception_fp_ieee_inexact 0
		.amdhsa_exception_int_div_zero 0
	.end_amdhsa_kernel
	.text
.Lfunc_end0:
	.size	bluestein_single_back_len51_dim1_sp_op_CI_CI, .Lfunc_end0-bluestein_single_back_len51_dim1_sp_op_CI_CI
                                        ; -- End function
	.section	.AMDGPU.csdata,"",@progbits
; Kernel info:
; codeLenInByte = 14380
; NumSgprs: 22
; NumVgprs: 186
; ScratchSize: 0
; MemoryBound: 0
; FloatMode: 240
; IeeeMode: 1
; LDSByteSize: 6120 bytes/workgroup (compile time only)
; SGPRBlocks: 2
; VGPRBlocks: 46
; NumSGPRsForWavesPerEU: 22
; NumVGPRsForWavesPerEU: 186
; Occupancy: 1
; WaveLimiterHint : 1
; COMPUTE_PGM_RSRC2:SCRATCH_EN: 0
; COMPUTE_PGM_RSRC2:USER_SGPR: 6
; COMPUTE_PGM_RSRC2:TRAP_HANDLER: 0
; COMPUTE_PGM_RSRC2:TGID_X_EN: 1
; COMPUTE_PGM_RSRC2:TGID_Y_EN: 0
; COMPUTE_PGM_RSRC2:TGID_Z_EN: 0
; COMPUTE_PGM_RSRC2:TIDIG_COMP_CNT: 0
	.type	__hip_cuid_bc67812f9a669fb8,@object ; @__hip_cuid_bc67812f9a669fb8
	.section	.bss,"aw",@nobits
	.globl	__hip_cuid_bc67812f9a669fb8
__hip_cuid_bc67812f9a669fb8:
	.byte	0                               ; 0x0
	.size	__hip_cuid_bc67812f9a669fb8, 1

	.ident	"AMD clang version 19.0.0git (https://github.com/RadeonOpenCompute/llvm-project roc-6.4.0 25133 c7fe45cf4b819c5991fe208aaa96edf142730f1d)"
	.section	".note.GNU-stack","",@progbits
	.addrsig
	.addrsig_sym __hip_cuid_bc67812f9a669fb8
	.amdgpu_metadata
---
amdhsa.kernels:
  - .args:
      - .actual_access:  read_only
        .address_space:  global
        .offset:         0
        .size:           8
        .value_kind:     global_buffer
      - .actual_access:  read_only
        .address_space:  global
        .offset:         8
        .size:           8
        .value_kind:     global_buffer
      - .actual_access:  read_only
        .address_space:  global
        .offset:         16
        .size:           8
        .value_kind:     global_buffer
      - .actual_access:  read_only
        .address_space:  global
        .offset:         24
        .size:           8
        .value_kind:     global_buffer
      - .actual_access:  read_only
        .address_space:  global
        .offset:         32
        .size:           8
        .value_kind:     global_buffer
      - .offset:         40
        .size:           8
        .value_kind:     by_value
      - .address_space:  global
        .offset:         48
        .size:           8
        .value_kind:     global_buffer
      - .address_space:  global
        .offset:         56
        .size:           8
        .value_kind:     global_buffer
      - .address_space:  global
        .offset:         64
        .size:           8
        .value_kind:     global_buffer
      - .address_space:  global
        .offset:         72
        .size:           8
        .value_kind:     global_buffer
      - .offset:         80
        .size:           4
        .value_kind:     by_value
      - .address_space:  global
        .offset:         88
        .size:           8
        .value_kind:     global_buffer
      - .address_space:  global
        .offset:         96
        .size:           8
        .value_kind:     global_buffer
    .group_segment_fixed_size: 6120
    .kernarg_segment_align: 8
    .kernarg_segment_size: 104
    .language:       OpenCL C
    .language_version:
      - 2
      - 0
    .max_flat_workgroup_size: 255
    .name:           bluestein_single_back_len51_dim1_sp_op_CI_CI
    .private_segment_fixed_size: 0
    .sgpr_count:     22
    .sgpr_spill_count: 0
    .symbol:         bluestein_single_back_len51_dim1_sp_op_CI_CI.kd
    .uniform_work_group_size: 1
    .uses_dynamic_stack: false
    .vgpr_count:     186
    .vgpr_spill_count: 0
    .wavefront_size: 64
amdhsa.target:   amdgcn-amd-amdhsa--gfx906
amdhsa.version:
  - 1
  - 2
...

	.end_amdgpu_metadata
